;; amdgpu-corpus repo=ROCm/rocSPARSE kind=compiled arch=gfx1250 opt=O3
	.amdgcn_target "amdgcn-amd-amdhsa--gfx1250"
	.amdhsa_code_object_version 6
	.section	.text._ZN9rocsparseL12axpyi_kernelILj256Efi18rocsparse_bfloat16S1_EEvT1_NS_24const_host_device_scalarIT0_EEPKT2_PKS2_PT3_21rocsparse_index_base_b,"axG",@progbits,_ZN9rocsparseL12axpyi_kernelILj256Efi18rocsparse_bfloat16S1_EEvT1_NS_24const_host_device_scalarIT0_EEPKT2_PKS2_PT3_21rocsparse_index_base_b,comdat
	.globl	_ZN9rocsparseL12axpyi_kernelILj256Efi18rocsparse_bfloat16S1_EEvT1_NS_24const_host_device_scalarIT0_EEPKT2_PKS2_PT3_21rocsparse_index_base_b ; -- Begin function _ZN9rocsparseL12axpyi_kernelILj256Efi18rocsparse_bfloat16S1_EEvT1_NS_24const_host_device_scalarIT0_EEPKT2_PKS2_PT3_21rocsparse_index_base_b
	.p2align	8
	.type	_ZN9rocsparseL12axpyi_kernelILj256Efi18rocsparse_bfloat16S1_EEvT1_NS_24const_host_device_scalarIT0_EEPKT2_PKS2_PT3_21rocsparse_index_base_b,@function
_ZN9rocsparseL12axpyi_kernelILj256Efi18rocsparse_bfloat16S1_EEvT1_NS_24const_host_device_scalarIT0_EEPKT2_PKS2_PT3_21rocsparse_index_base_b: ; @_ZN9rocsparseL12axpyi_kernelILj256Efi18rocsparse_bfloat16S1_EEvT1_NS_24const_host_device_scalarIT0_EEPKT2_PKS2_PT3_21rocsparse_index_base_b
; %bb.0:
	s_endpgm
	.section	.rodata,"a",@progbits
	.p2align	6, 0x0
	.amdhsa_kernel _ZN9rocsparseL12axpyi_kernelILj256Efi18rocsparse_bfloat16S1_EEvT1_NS_24const_host_device_scalarIT0_EEPKT2_PKS2_PT3_21rocsparse_index_base_b
		.amdhsa_group_segment_fixed_size 0
		.amdhsa_private_segment_fixed_size 0
		.amdhsa_kernarg_size 48
		.amdhsa_user_sgpr_count 2
		.amdhsa_user_sgpr_dispatch_ptr 0
		.amdhsa_user_sgpr_queue_ptr 0
		.amdhsa_user_sgpr_kernarg_segment_ptr 1
		.amdhsa_user_sgpr_dispatch_id 0
		.amdhsa_user_sgpr_kernarg_preload_length 0
		.amdhsa_user_sgpr_kernarg_preload_offset 0
		.amdhsa_user_sgpr_private_segment_size 0
		.amdhsa_wavefront_size32 1
		.amdhsa_uses_dynamic_stack 0
		.amdhsa_enable_private_segment 0
		.amdhsa_system_sgpr_workgroup_id_x 1
		.amdhsa_system_sgpr_workgroup_id_y 0
		.amdhsa_system_sgpr_workgroup_id_z 0
		.amdhsa_system_sgpr_workgroup_info 0
		.amdhsa_system_vgpr_workitem_id 0
		.amdhsa_next_free_vgpr 1
		.amdhsa_next_free_sgpr 1
		.amdhsa_named_barrier_count 0
		.amdhsa_reserve_vcc 0
		.amdhsa_float_round_mode_32 0
		.amdhsa_float_round_mode_16_64 0
		.amdhsa_float_denorm_mode_32 3
		.amdhsa_float_denorm_mode_16_64 3
		.amdhsa_fp16_overflow 0
		.amdhsa_memory_ordered 1
		.amdhsa_forward_progress 1
		.amdhsa_inst_pref_size 1
		.amdhsa_round_robin_scheduling 0
		.amdhsa_exception_fp_ieee_invalid_op 0
		.amdhsa_exception_fp_denorm_src 0
		.amdhsa_exception_fp_ieee_div_zero 0
		.amdhsa_exception_fp_ieee_overflow 0
		.amdhsa_exception_fp_ieee_underflow 0
		.amdhsa_exception_fp_ieee_inexact 0
		.amdhsa_exception_int_div_zero 0
	.end_amdhsa_kernel
	.section	.text._ZN9rocsparseL12axpyi_kernelILj256Efi18rocsparse_bfloat16S1_EEvT1_NS_24const_host_device_scalarIT0_EEPKT2_PKS2_PT3_21rocsparse_index_base_b,"axG",@progbits,_ZN9rocsparseL12axpyi_kernelILj256Efi18rocsparse_bfloat16S1_EEvT1_NS_24const_host_device_scalarIT0_EEPKT2_PKS2_PT3_21rocsparse_index_base_b,comdat
.Lfunc_end0:
	.size	_ZN9rocsparseL12axpyi_kernelILj256Efi18rocsparse_bfloat16S1_EEvT1_NS_24const_host_device_scalarIT0_EEPKT2_PKS2_PT3_21rocsparse_index_base_b, .Lfunc_end0-_ZN9rocsparseL12axpyi_kernelILj256Efi18rocsparse_bfloat16S1_EEvT1_NS_24const_host_device_scalarIT0_EEPKT2_PKS2_PT3_21rocsparse_index_base_b
                                        ; -- End function
	.set _ZN9rocsparseL12axpyi_kernelILj256Efi18rocsparse_bfloat16S1_EEvT1_NS_24const_host_device_scalarIT0_EEPKT2_PKS2_PT3_21rocsparse_index_base_b.num_vgpr, 0
	.set _ZN9rocsparseL12axpyi_kernelILj256Efi18rocsparse_bfloat16S1_EEvT1_NS_24const_host_device_scalarIT0_EEPKT2_PKS2_PT3_21rocsparse_index_base_b.num_agpr, 0
	.set _ZN9rocsparseL12axpyi_kernelILj256Efi18rocsparse_bfloat16S1_EEvT1_NS_24const_host_device_scalarIT0_EEPKT2_PKS2_PT3_21rocsparse_index_base_b.numbered_sgpr, 0
	.set _ZN9rocsparseL12axpyi_kernelILj256Efi18rocsparse_bfloat16S1_EEvT1_NS_24const_host_device_scalarIT0_EEPKT2_PKS2_PT3_21rocsparse_index_base_b.num_named_barrier, 0
	.set _ZN9rocsparseL12axpyi_kernelILj256Efi18rocsparse_bfloat16S1_EEvT1_NS_24const_host_device_scalarIT0_EEPKT2_PKS2_PT3_21rocsparse_index_base_b.private_seg_size, 0
	.set _ZN9rocsparseL12axpyi_kernelILj256Efi18rocsparse_bfloat16S1_EEvT1_NS_24const_host_device_scalarIT0_EEPKT2_PKS2_PT3_21rocsparse_index_base_b.uses_vcc, 0
	.set _ZN9rocsparseL12axpyi_kernelILj256Efi18rocsparse_bfloat16S1_EEvT1_NS_24const_host_device_scalarIT0_EEPKT2_PKS2_PT3_21rocsparse_index_base_b.uses_flat_scratch, 0
	.set _ZN9rocsparseL12axpyi_kernelILj256Efi18rocsparse_bfloat16S1_EEvT1_NS_24const_host_device_scalarIT0_EEPKT2_PKS2_PT3_21rocsparse_index_base_b.has_dyn_sized_stack, 0
	.set _ZN9rocsparseL12axpyi_kernelILj256Efi18rocsparse_bfloat16S1_EEvT1_NS_24const_host_device_scalarIT0_EEPKT2_PKS2_PT3_21rocsparse_index_base_b.has_recursion, 0
	.set _ZN9rocsparseL12axpyi_kernelILj256Efi18rocsparse_bfloat16S1_EEvT1_NS_24const_host_device_scalarIT0_EEPKT2_PKS2_PT3_21rocsparse_index_base_b.has_indirect_call, 0
	.section	.AMDGPU.csdata,"",@progbits
; Kernel info:
; codeLenInByte = 4
; TotalNumSgprs: 0
; NumVgprs: 0
; ScratchSize: 0
; MemoryBound: 0
; FloatMode: 240
; IeeeMode: 1
; LDSByteSize: 0 bytes/workgroup (compile time only)
; SGPRBlocks: 0
; VGPRBlocks: 0
; NumSGPRsForWavesPerEU: 1
; NumVGPRsForWavesPerEU: 1
; NamedBarCnt: 0
; Occupancy: 16
; WaveLimiterHint : 0
; COMPUTE_PGM_RSRC2:SCRATCH_EN: 0
; COMPUTE_PGM_RSRC2:USER_SGPR: 2
; COMPUTE_PGM_RSRC2:TRAP_HANDLER: 0
; COMPUTE_PGM_RSRC2:TGID_X_EN: 1
; COMPUTE_PGM_RSRC2:TGID_Y_EN: 0
; COMPUTE_PGM_RSRC2:TGID_Z_EN: 0
; COMPUTE_PGM_RSRC2:TIDIG_COMP_CNT: 0
	.section	.text._ZN9rocsparseL12axpyi_kernelILj256EfiDF16_DF16_EEvT1_NS_24const_host_device_scalarIT0_EEPKT2_PKS1_PT3_21rocsparse_index_base_b,"axG",@progbits,_ZN9rocsparseL12axpyi_kernelILj256EfiDF16_DF16_EEvT1_NS_24const_host_device_scalarIT0_EEPKT2_PKS1_PT3_21rocsparse_index_base_b,comdat
	.globl	_ZN9rocsparseL12axpyi_kernelILj256EfiDF16_DF16_EEvT1_NS_24const_host_device_scalarIT0_EEPKT2_PKS1_PT3_21rocsparse_index_base_b ; -- Begin function _ZN9rocsparseL12axpyi_kernelILj256EfiDF16_DF16_EEvT1_NS_24const_host_device_scalarIT0_EEPKT2_PKS1_PT3_21rocsparse_index_base_b
	.p2align	8
	.type	_ZN9rocsparseL12axpyi_kernelILj256EfiDF16_DF16_EEvT1_NS_24const_host_device_scalarIT0_EEPKT2_PKS1_PT3_21rocsparse_index_base_b,@function
_ZN9rocsparseL12axpyi_kernelILj256EfiDF16_DF16_EEvT1_NS_24const_host_device_scalarIT0_EEPKT2_PKS1_PT3_21rocsparse_index_base_b: ; @_ZN9rocsparseL12axpyi_kernelILj256EfiDF16_DF16_EEvT1_NS_24const_host_device_scalarIT0_EEPKT2_PKS1_PT3_21rocsparse_index_base_b
; %bb.0:
	s_clause 0x1
	s_load_b64 s[4:5], s[0:1], 0x28
	s_load_b64 s[2:3], s[0:1], 0x8
	s_wait_kmcnt 0x0
	s_bitcmp1_b32 s5, 0
	s_cselect_b32 s5, -1, 0
	s_delay_alu instid0(SALU_CYCLE_1)
	s_and_b32 vcc_lo, exec_lo, s5
	s_cbranch_vccnz .LBB1_2
; %bb.1:
	s_load_b32 s2, s[2:3], 0x0
.LBB1_2:
	s_wait_kmcnt 0x0
	s_cmp_neq_f32 s2, 0
	s_load_b32 s3, s[0:1], 0x0
	s_getreg_b32 s8, hwreg(HW_REG_IB_STS2, 6, 4)
	s_cselect_b32 s5, -1, 0
	s_bfe_u32 s6, ttmp6, 0x4000c
	s_and_b32 s7, ttmp6, 15
	s_add_co_i32 s6, s6, 1
	s_delay_alu instid0(SALU_CYCLE_1) | instskip(NEXT) | instid1(SALU_CYCLE_1)
	s_mul_i32 s6, ttmp9, s6
	s_add_co_i32 s7, s7, s6
	s_cmp_eq_u32 s8, 0
	s_cselect_b32 s6, ttmp9, s7
	s_delay_alu instid0(SALU_CYCLE_1) | instskip(SKIP_1) | instid1(VALU_DEP_1)
	v_lshl_or_b32 v0, s6, 8, v0
	s_wait_kmcnt 0x0
	v_cmp_gt_i32_e32 vcc_lo, s3, v0
	s_and_b32 s3, s5, vcc_lo
	s_delay_alu instid0(SALU_CYCLE_1)
	s_and_saveexec_b32 s5, s3
	s_cbranch_execz .LBB1_4
; %bb.3:
	s_clause 0x1
	s_load_b128 s[8:11], s[0:1], 0x10
	s_load_b64 s[6:7], s[0:1], 0x20
	s_wait_kmcnt 0x0
	s_clause 0x1
	global_load_b32 v1, v0, s[10:11] scale_offset
	global_load_u16 v2, v0, s[8:9] scale_offset
	s_wait_loadcnt 0x1
	s_wait_xcnt 0x0
	v_subrev_nc_u32_e32 v0, s4, v1
	global_load_u16 v1, v0, s[6:7] scale_offset
	s_wait_loadcnt 0x0
	v_fma_mixlo_f16 v1, s2, v2, v1 op_sel_hi:[0,1,1]
	global_store_b16 v0, v1, s[6:7] scale_offset
.LBB1_4:
	s_endpgm
	.section	.rodata,"a",@progbits
	.p2align	6, 0x0
	.amdhsa_kernel _ZN9rocsparseL12axpyi_kernelILj256EfiDF16_DF16_EEvT1_NS_24const_host_device_scalarIT0_EEPKT2_PKS1_PT3_21rocsparse_index_base_b
		.amdhsa_group_segment_fixed_size 0
		.amdhsa_private_segment_fixed_size 0
		.amdhsa_kernarg_size 48
		.amdhsa_user_sgpr_count 2
		.amdhsa_user_sgpr_dispatch_ptr 0
		.amdhsa_user_sgpr_queue_ptr 0
		.amdhsa_user_sgpr_kernarg_segment_ptr 1
		.amdhsa_user_sgpr_dispatch_id 0
		.amdhsa_user_sgpr_kernarg_preload_length 0
		.amdhsa_user_sgpr_kernarg_preload_offset 0
		.amdhsa_user_sgpr_private_segment_size 0
		.amdhsa_wavefront_size32 1
		.amdhsa_uses_dynamic_stack 0
		.amdhsa_enable_private_segment 0
		.amdhsa_system_sgpr_workgroup_id_x 1
		.amdhsa_system_sgpr_workgroup_id_y 0
		.amdhsa_system_sgpr_workgroup_id_z 0
		.amdhsa_system_sgpr_workgroup_info 0
		.amdhsa_system_vgpr_workitem_id 0
		.amdhsa_next_free_vgpr 3
		.amdhsa_next_free_sgpr 12
		.amdhsa_named_barrier_count 0
		.amdhsa_reserve_vcc 1
		.amdhsa_float_round_mode_32 0
		.amdhsa_float_round_mode_16_64 0
		.amdhsa_float_denorm_mode_32 3
		.amdhsa_float_denorm_mode_16_64 3
		.amdhsa_fp16_overflow 0
		.amdhsa_memory_ordered 1
		.amdhsa_forward_progress 1
		.amdhsa_inst_pref_size 2
		.amdhsa_round_robin_scheduling 0
		.amdhsa_exception_fp_ieee_invalid_op 0
		.amdhsa_exception_fp_denorm_src 0
		.amdhsa_exception_fp_ieee_div_zero 0
		.amdhsa_exception_fp_ieee_overflow 0
		.amdhsa_exception_fp_ieee_underflow 0
		.amdhsa_exception_fp_ieee_inexact 0
		.amdhsa_exception_int_div_zero 0
	.end_amdhsa_kernel
	.section	.text._ZN9rocsparseL12axpyi_kernelILj256EfiDF16_DF16_EEvT1_NS_24const_host_device_scalarIT0_EEPKT2_PKS1_PT3_21rocsparse_index_base_b,"axG",@progbits,_ZN9rocsparseL12axpyi_kernelILj256EfiDF16_DF16_EEvT1_NS_24const_host_device_scalarIT0_EEPKT2_PKS1_PT3_21rocsparse_index_base_b,comdat
.Lfunc_end1:
	.size	_ZN9rocsparseL12axpyi_kernelILj256EfiDF16_DF16_EEvT1_NS_24const_host_device_scalarIT0_EEPKT2_PKS1_PT3_21rocsparse_index_base_b, .Lfunc_end1-_ZN9rocsparseL12axpyi_kernelILj256EfiDF16_DF16_EEvT1_NS_24const_host_device_scalarIT0_EEPKT2_PKS1_PT3_21rocsparse_index_base_b
                                        ; -- End function
	.set _ZN9rocsparseL12axpyi_kernelILj256EfiDF16_DF16_EEvT1_NS_24const_host_device_scalarIT0_EEPKT2_PKS1_PT3_21rocsparse_index_base_b.num_vgpr, 3
	.set _ZN9rocsparseL12axpyi_kernelILj256EfiDF16_DF16_EEvT1_NS_24const_host_device_scalarIT0_EEPKT2_PKS1_PT3_21rocsparse_index_base_b.num_agpr, 0
	.set _ZN9rocsparseL12axpyi_kernelILj256EfiDF16_DF16_EEvT1_NS_24const_host_device_scalarIT0_EEPKT2_PKS1_PT3_21rocsparse_index_base_b.numbered_sgpr, 12
	.set _ZN9rocsparseL12axpyi_kernelILj256EfiDF16_DF16_EEvT1_NS_24const_host_device_scalarIT0_EEPKT2_PKS1_PT3_21rocsparse_index_base_b.num_named_barrier, 0
	.set _ZN9rocsparseL12axpyi_kernelILj256EfiDF16_DF16_EEvT1_NS_24const_host_device_scalarIT0_EEPKT2_PKS1_PT3_21rocsparse_index_base_b.private_seg_size, 0
	.set _ZN9rocsparseL12axpyi_kernelILj256EfiDF16_DF16_EEvT1_NS_24const_host_device_scalarIT0_EEPKT2_PKS1_PT3_21rocsparse_index_base_b.uses_vcc, 1
	.set _ZN9rocsparseL12axpyi_kernelILj256EfiDF16_DF16_EEvT1_NS_24const_host_device_scalarIT0_EEPKT2_PKS1_PT3_21rocsparse_index_base_b.uses_flat_scratch, 0
	.set _ZN9rocsparseL12axpyi_kernelILj256EfiDF16_DF16_EEvT1_NS_24const_host_device_scalarIT0_EEPKT2_PKS1_PT3_21rocsparse_index_base_b.has_dyn_sized_stack, 0
	.set _ZN9rocsparseL12axpyi_kernelILj256EfiDF16_DF16_EEvT1_NS_24const_host_device_scalarIT0_EEPKT2_PKS1_PT3_21rocsparse_index_base_b.has_recursion, 0
	.set _ZN9rocsparseL12axpyi_kernelILj256EfiDF16_DF16_EEvT1_NS_24const_host_device_scalarIT0_EEPKT2_PKS1_PT3_21rocsparse_index_base_b.has_indirect_call, 0
	.section	.AMDGPU.csdata,"",@progbits
; Kernel info:
; codeLenInByte = 252
; TotalNumSgprs: 14
; NumVgprs: 3
; ScratchSize: 0
; MemoryBound: 0
; FloatMode: 240
; IeeeMode: 1
; LDSByteSize: 0 bytes/workgroup (compile time only)
; SGPRBlocks: 0
; VGPRBlocks: 0
; NumSGPRsForWavesPerEU: 14
; NumVGPRsForWavesPerEU: 3
; NamedBarCnt: 0
; Occupancy: 16
; WaveLimiterHint : 1
; COMPUTE_PGM_RSRC2:SCRATCH_EN: 0
; COMPUTE_PGM_RSRC2:USER_SGPR: 2
; COMPUTE_PGM_RSRC2:TRAP_HANDLER: 0
; COMPUTE_PGM_RSRC2:TGID_X_EN: 1
; COMPUTE_PGM_RSRC2:TGID_Y_EN: 0
; COMPUTE_PGM_RSRC2:TGID_Z_EN: 0
; COMPUTE_PGM_RSRC2:TIDIG_COMP_CNT: 0
	.section	.text._ZN9rocsparseL12axpyi_kernelILj256EfiffEEvT1_NS_24const_host_device_scalarIT0_EEPKT2_PKS1_PT3_21rocsparse_index_base_b,"axG",@progbits,_ZN9rocsparseL12axpyi_kernelILj256EfiffEEvT1_NS_24const_host_device_scalarIT0_EEPKT2_PKS1_PT3_21rocsparse_index_base_b,comdat
	.globl	_ZN9rocsparseL12axpyi_kernelILj256EfiffEEvT1_NS_24const_host_device_scalarIT0_EEPKT2_PKS1_PT3_21rocsparse_index_base_b ; -- Begin function _ZN9rocsparseL12axpyi_kernelILj256EfiffEEvT1_NS_24const_host_device_scalarIT0_EEPKT2_PKS1_PT3_21rocsparse_index_base_b
	.p2align	8
	.type	_ZN9rocsparseL12axpyi_kernelILj256EfiffEEvT1_NS_24const_host_device_scalarIT0_EEPKT2_PKS1_PT3_21rocsparse_index_base_b,@function
_ZN9rocsparseL12axpyi_kernelILj256EfiffEEvT1_NS_24const_host_device_scalarIT0_EEPKT2_PKS1_PT3_21rocsparse_index_base_b: ; @_ZN9rocsparseL12axpyi_kernelILj256EfiffEEvT1_NS_24const_host_device_scalarIT0_EEPKT2_PKS1_PT3_21rocsparse_index_base_b
; %bb.0:
	s_clause 0x1
	s_load_b64 s[4:5], s[0:1], 0x28
	s_load_b64 s[2:3], s[0:1], 0x8
	s_wait_kmcnt 0x0
	s_bitcmp1_b32 s5, 0
	s_cselect_b32 s5, -1, 0
	s_delay_alu instid0(SALU_CYCLE_1)
	s_and_b32 vcc_lo, exec_lo, s5
	s_cbranch_vccnz .LBB2_2
; %bb.1:
	s_load_b32 s2, s[2:3], 0x0
.LBB2_2:
	s_wait_kmcnt 0x0
	s_cmp_neq_f32 s2, 0
	s_load_b32 s3, s[0:1], 0x0
	s_getreg_b32 s8, hwreg(HW_REG_IB_STS2, 6, 4)
	s_cselect_b32 s5, -1, 0
	s_bfe_u32 s6, ttmp6, 0x4000c
	s_and_b32 s7, ttmp6, 15
	s_add_co_i32 s6, s6, 1
	s_delay_alu instid0(SALU_CYCLE_1) | instskip(NEXT) | instid1(SALU_CYCLE_1)
	s_mul_i32 s6, ttmp9, s6
	s_add_co_i32 s7, s7, s6
	s_cmp_eq_u32 s8, 0
	s_cselect_b32 s6, ttmp9, s7
	s_delay_alu instid0(SALU_CYCLE_1) | instskip(SKIP_1) | instid1(VALU_DEP_1)
	v_lshl_or_b32 v0, s6, 8, v0
	s_wait_kmcnt 0x0
	v_cmp_gt_i32_e32 vcc_lo, s3, v0
	s_and_b32 s3, s5, vcc_lo
	s_delay_alu instid0(SALU_CYCLE_1)
	s_and_saveexec_b32 s5, s3
	s_cbranch_execz .LBB2_4
; %bb.3:
	s_clause 0x1
	s_load_b128 s[8:11], s[0:1], 0x10
	s_load_b64 s[6:7], s[0:1], 0x20
	s_wait_kmcnt 0x0
	s_clause 0x1
	global_load_b32 v1, v0, s[10:11] scale_offset
	global_load_b32 v2, v0, s[8:9] scale_offset
	s_wait_loadcnt 0x1
	s_wait_xcnt 0x0
	v_subrev_nc_u32_e32 v0, s4, v1
	global_load_b32 v1, v0, s[6:7] scale_offset
	s_wait_loadcnt 0x0
	v_fmac_f32_e32 v1, s2, v2
	global_store_b32 v0, v1, s[6:7] scale_offset
.LBB2_4:
	s_endpgm
	.section	.rodata,"a",@progbits
	.p2align	6, 0x0
	.amdhsa_kernel _ZN9rocsparseL12axpyi_kernelILj256EfiffEEvT1_NS_24const_host_device_scalarIT0_EEPKT2_PKS1_PT3_21rocsparse_index_base_b
		.amdhsa_group_segment_fixed_size 0
		.amdhsa_private_segment_fixed_size 0
		.amdhsa_kernarg_size 48
		.amdhsa_user_sgpr_count 2
		.amdhsa_user_sgpr_dispatch_ptr 0
		.amdhsa_user_sgpr_queue_ptr 0
		.amdhsa_user_sgpr_kernarg_segment_ptr 1
		.amdhsa_user_sgpr_dispatch_id 0
		.amdhsa_user_sgpr_kernarg_preload_length 0
		.amdhsa_user_sgpr_kernarg_preload_offset 0
		.amdhsa_user_sgpr_private_segment_size 0
		.amdhsa_wavefront_size32 1
		.amdhsa_uses_dynamic_stack 0
		.amdhsa_enable_private_segment 0
		.amdhsa_system_sgpr_workgroup_id_x 1
		.amdhsa_system_sgpr_workgroup_id_y 0
		.amdhsa_system_sgpr_workgroup_id_z 0
		.amdhsa_system_sgpr_workgroup_info 0
		.amdhsa_system_vgpr_workitem_id 0
		.amdhsa_next_free_vgpr 3
		.amdhsa_next_free_sgpr 12
		.amdhsa_named_barrier_count 0
		.amdhsa_reserve_vcc 1
		.amdhsa_float_round_mode_32 0
		.amdhsa_float_round_mode_16_64 0
		.amdhsa_float_denorm_mode_32 3
		.amdhsa_float_denorm_mode_16_64 3
		.amdhsa_fp16_overflow 0
		.amdhsa_memory_ordered 1
		.amdhsa_forward_progress 1
		.amdhsa_inst_pref_size 2
		.amdhsa_round_robin_scheduling 0
		.amdhsa_exception_fp_ieee_invalid_op 0
		.amdhsa_exception_fp_denorm_src 0
		.amdhsa_exception_fp_ieee_div_zero 0
		.amdhsa_exception_fp_ieee_overflow 0
		.amdhsa_exception_fp_ieee_underflow 0
		.amdhsa_exception_fp_ieee_inexact 0
		.amdhsa_exception_int_div_zero 0
	.end_amdhsa_kernel
	.section	.text._ZN9rocsparseL12axpyi_kernelILj256EfiffEEvT1_NS_24const_host_device_scalarIT0_EEPKT2_PKS1_PT3_21rocsparse_index_base_b,"axG",@progbits,_ZN9rocsparseL12axpyi_kernelILj256EfiffEEvT1_NS_24const_host_device_scalarIT0_EEPKT2_PKS1_PT3_21rocsparse_index_base_b,comdat
.Lfunc_end2:
	.size	_ZN9rocsparseL12axpyi_kernelILj256EfiffEEvT1_NS_24const_host_device_scalarIT0_EEPKT2_PKS1_PT3_21rocsparse_index_base_b, .Lfunc_end2-_ZN9rocsparseL12axpyi_kernelILj256EfiffEEvT1_NS_24const_host_device_scalarIT0_EEPKT2_PKS1_PT3_21rocsparse_index_base_b
                                        ; -- End function
	.set _ZN9rocsparseL12axpyi_kernelILj256EfiffEEvT1_NS_24const_host_device_scalarIT0_EEPKT2_PKS1_PT3_21rocsparse_index_base_b.num_vgpr, 3
	.set _ZN9rocsparseL12axpyi_kernelILj256EfiffEEvT1_NS_24const_host_device_scalarIT0_EEPKT2_PKS1_PT3_21rocsparse_index_base_b.num_agpr, 0
	.set _ZN9rocsparseL12axpyi_kernelILj256EfiffEEvT1_NS_24const_host_device_scalarIT0_EEPKT2_PKS1_PT3_21rocsparse_index_base_b.numbered_sgpr, 12
	.set _ZN9rocsparseL12axpyi_kernelILj256EfiffEEvT1_NS_24const_host_device_scalarIT0_EEPKT2_PKS1_PT3_21rocsparse_index_base_b.num_named_barrier, 0
	.set _ZN9rocsparseL12axpyi_kernelILj256EfiffEEvT1_NS_24const_host_device_scalarIT0_EEPKT2_PKS1_PT3_21rocsparse_index_base_b.private_seg_size, 0
	.set _ZN9rocsparseL12axpyi_kernelILj256EfiffEEvT1_NS_24const_host_device_scalarIT0_EEPKT2_PKS1_PT3_21rocsparse_index_base_b.uses_vcc, 1
	.set _ZN9rocsparseL12axpyi_kernelILj256EfiffEEvT1_NS_24const_host_device_scalarIT0_EEPKT2_PKS1_PT3_21rocsparse_index_base_b.uses_flat_scratch, 0
	.set _ZN9rocsparseL12axpyi_kernelILj256EfiffEEvT1_NS_24const_host_device_scalarIT0_EEPKT2_PKS1_PT3_21rocsparse_index_base_b.has_dyn_sized_stack, 0
	.set _ZN9rocsparseL12axpyi_kernelILj256EfiffEEvT1_NS_24const_host_device_scalarIT0_EEPKT2_PKS1_PT3_21rocsparse_index_base_b.has_recursion, 0
	.set _ZN9rocsparseL12axpyi_kernelILj256EfiffEEvT1_NS_24const_host_device_scalarIT0_EEPKT2_PKS1_PT3_21rocsparse_index_base_b.has_indirect_call, 0
	.section	.AMDGPU.csdata,"",@progbits
; Kernel info:
; codeLenInByte = 248
; TotalNumSgprs: 14
; NumVgprs: 3
; ScratchSize: 0
; MemoryBound: 0
; FloatMode: 240
; IeeeMode: 1
; LDSByteSize: 0 bytes/workgroup (compile time only)
; SGPRBlocks: 0
; VGPRBlocks: 0
; NumSGPRsForWavesPerEU: 14
; NumVGPRsForWavesPerEU: 3
; NamedBarCnt: 0
; Occupancy: 16
; WaveLimiterHint : 1
; COMPUTE_PGM_RSRC2:SCRATCH_EN: 0
; COMPUTE_PGM_RSRC2:USER_SGPR: 2
; COMPUTE_PGM_RSRC2:TRAP_HANDLER: 0
; COMPUTE_PGM_RSRC2:TGID_X_EN: 1
; COMPUTE_PGM_RSRC2:TGID_Y_EN: 0
; COMPUTE_PGM_RSRC2:TGID_Z_EN: 0
; COMPUTE_PGM_RSRC2:TIDIG_COMP_CNT: 0
	.section	.text._ZN9rocsparseL12axpyi_kernelILj256EdiddEEvT1_NS_24const_host_device_scalarIT0_EEPKT2_PKS1_PT3_21rocsparse_index_base_b,"axG",@progbits,_ZN9rocsparseL12axpyi_kernelILj256EdiddEEvT1_NS_24const_host_device_scalarIT0_EEPKT2_PKS1_PT3_21rocsparse_index_base_b,comdat
	.globl	_ZN9rocsparseL12axpyi_kernelILj256EdiddEEvT1_NS_24const_host_device_scalarIT0_EEPKT2_PKS1_PT3_21rocsparse_index_base_b ; -- Begin function _ZN9rocsparseL12axpyi_kernelILj256EdiddEEvT1_NS_24const_host_device_scalarIT0_EEPKT2_PKS1_PT3_21rocsparse_index_base_b
	.p2align	8
	.type	_ZN9rocsparseL12axpyi_kernelILj256EdiddEEvT1_NS_24const_host_device_scalarIT0_EEPKT2_PKS1_PT3_21rocsparse_index_base_b,@function
_ZN9rocsparseL12axpyi_kernelILj256EdiddEEvT1_NS_24const_host_device_scalarIT0_EEPKT2_PKS1_PT3_21rocsparse_index_base_b: ; @_ZN9rocsparseL12axpyi_kernelILj256EdiddEEvT1_NS_24const_host_device_scalarIT0_EEPKT2_PKS1_PT3_21rocsparse_index_base_b
; %bb.0:
	s_clause 0x1
	s_load_b64 s[4:5], s[0:1], 0x28
	s_load_b64 s[2:3], s[0:1], 0x8
	s_wait_kmcnt 0x0
	s_bitcmp1_b32 s5, 0
	v_mov_b64_e32 v[2:3], s[2:3]
	s_cselect_b32 s5, -1, 0
	s_delay_alu instid0(SALU_CYCLE_1)
	s_and_b32 vcc_lo, exec_lo, s5
	s_cbranch_vccnz .LBB3_2
; %bb.1:
	v_mov_b32_e32 v1, 0
	flat_load_b64 v[2:3], v1, s[2:3]
.LBB3_2:
	s_wait_loadcnt_dscnt 0x0
	s_delay_alu instid0(VALU_DEP_1)
	v_cmp_neq_f64_e32 vcc_lo, 0, v[2:3]
	s_load_b32 s2, s[0:1], 0x0
	s_bfe_u32 s3, ttmp6, 0x4000c
	s_and_b32 s5, ttmp6, 15
	s_add_co_i32 s3, s3, 1
	s_getreg_b32 s6, hwreg(HW_REG_IB_STS2, 6, 4)
	s_mul_i32 s3, ttmp9, s3
	s_delay_alu instid0(SALU_CYCLE_1) | instskip(SKIP_2) | instid1(SALU_CYCLE_1)
	s_add_co_i32 s5, s5, s3
	s_cmp_eq_u32 s6, 0
	s_cselect_b32 s3, ttmp9, s5
	v_lshl_or_b32 v0, s3, 8, v0
	s_wait_kmcnt 0x0
	s_delay_alu instid0(VALU_DEP_1) | instskip(SKIP_1) | instid1(SALU_CYCLE_1)
	v_cmp_gt_i32_e64 s2, s2, v0
	s_and_b32 s2, vcc_lo, s2
	s_and_saveexec_b32 s3, s2
	s_cbranch_execz .LBB3_4
; %bb.3:
	s_clause 0x1
	s_load_b128 s[8:11], s[0:1], 0x10
	s_load_b64 s[2:3], s[0:1], 0x20
	s_wait_kmcnt 0x0
	s_clause 0x1
	global_load_b32 v1, v0, s[10:11] scale_offset
	global_load_b64 v[4:5], v0, s[8:9] scale_offset
	s_wait_loadcnt 0x1
	v_subrev_nc_u32_e32 v6, s4, v1
	global_load_b64 v[0:1], v6, s[2:3] scale_offset
	s_wait_loadcnt 0x0
	v_fmac_f64_e32 v[0:1], v[2:3], v[4:5]
	global_store_b64 v6, v[0:1], s[2:3] scale_offset
.LBB3_4:
	s_endpgm
	.section	.rodata,"a",@progbits
	.p2align	6, 0x0
	.amdhsa_kernel _ZN9rocsparseL12axpyi_kernelILj256EdiddEEvT1_NS_24const_host_device_scalarIT0_EEPKT2_PKS1_PT3_21rocsparse_index_base_b
		.amdhsa_group_segment_fixed_size 0
		.amdhsa_private_segment_fixed_size 0
		.amdhsa_kernarg_size 48
		.amdhsa_user_sgpr_count 2
		.amdhsa_user_sgpr_dispatch_ptr 0
		.amdhsa_user_sgpr_queue_ptr 0
		.amdhsa_user_sgpr_kernarg_segment_ptr 1
		.amdhsa_user_sgpr_dispatch_id 0
		.amdhsa_user_sgpr_kernarg_preload_length 0
		.amdhsa_user_sgpr_kernarg_preload_offset 0
		.amdhsa_user_sgpr_private_segment_size 0
		.amdhsa_wavefront_size32 1
		.amdhsa_uses_dynamic_stack 0
		.amdhsa_enable_private_segment 0
		.amdhsa_system_sgpr_workgroup_id_x 1
		.amdhsa_system_sgpr_workgroup_id_y 0
		.amdhsa_system_sgpr_workgroup_id_z 0
		.amdhsa_system_sgpr_workgroup_info 0
		.amdhsa_system_vgpr_workitem_id 0
		.amdhsa_next_free_vgpr 7
		.amdhsa_next_free_sgpr 12
		.amdhsa_named_barrier_count 0
		.amdhsa_reserve_vcc 1
		.amdhsa_float_round_mode_32 0
		.amdhsa_float_round_mode_16_64 0
		.amdhsa_float_denorm_mode_32 3
		.amdhsa_float_denorm_mode_16_64 3
		.amdhsa_fp16_overflow 0
		.amdhsa_memory_ordered 1
		.amdhsa_forward_progress 1
		.amdhsa_inst_pref_size 2
		.amdhsa_round_robin_scheduling 0
		.amdhsa_exception_fp_ieee_invalid_op 0
		.amdhsa_exception_fp_denorm_src 0
		.amdhsa_exception_fp_ieee_div_zero 0
		.amdhsa_exception_fp_ieee_overflow 0
		.amdhsa_exception_fp_ieee_underflow 0
		.amdhsa_exception_fp_ieee_inexact 0
		.amdhsa_exception_int_div_zero 0
	.end_amdhsa_kernel
	.section	.text._ZN9rocsparseL12axpyi_kernelILj256EdiddEEvT1_NS_24const_host_device_scalarIT0_EEPKT2_PKS1_PT3_21rocsparse_index_base_b,"axG",@progbits,_ZN9rocsparseL12axpyi_kernelILj256EdiddEEvT1_NS_24const_host_device_scalarIT0_EEPKT2_PKS1_PT3_21rocsparse_index_base_b,comdat
.Lfunc_end3:
	.size	_ZN9rocsparseL12axpyi_kernelILj256EdiddEEvT1_NS_24const_host_device_scalarIT0_EEPKT2_PKS1_PT3_21rocsparse_index_base_b, .Lfunc_end3-_ZN9rocsparseL12axpyi_kernelILj256EdiddEEvT1_NS_24const_host_device_scalarIT0_EEPKT2_PKS1_PT3_21rocsparse_index_base_b
                                        ; -- End function
	.set _ZN9rocsparseL12axpyi_kernelILj256EdiddEEvT1_NS_24const_host_device_scalarIT0_EEPKT2_PKS1_PT3_21rocsparse_index_base_b.num_vgpr, 7
	.set _ZN9rocsparseL12axpyi_kernelILj256EdiddEEvT1_NS_24const_host_device_scalarIT0_EEPKT2_PKS1_PT3_21rocsparse_index_base_b.num_agpr, 0
	.set _ZN9rocsparseL12axpyi_kernelILj256EdiddEEvT1_NS_24const_host_device_scalarIT0_EEPKT2_PKS1_PT3_21rocsparse_index_base_b.numbered_sgpr, 12
	.set _ZN9rocsparseL12axpyi_kernelILj256EdiddEEvT1_NS_24const_host_device_scalarIT0_EEPKT2_PKS1_PT3_21rocsparse_index_base_b.num_named_barrier, 0
	.set _ZN9rocsparseL12axpyi_kernelILj256EdiddEEvT1_NS_24const_host_device_scalarIT0_EEPKT2_PKS1_PT3_21rocsparse_index_base_b.private_seg_size, 0
	.set _ZN9rocsparseL12axpyi_kernelILj256EdiddEEvT1_NS_24const_host_device_scalarIT0_EEPKT2_PKS1_PT3_21rocsparse_index_base_b.uses_vcc, 1
	.set _ZN9rocsparseL12axpyi_kernelILj256EdiddEEvT1_NS_24const_host_device_scalarIT0_EEPKT2_PKS1_PT3_21rocsparse_index_base_b.uses_flat_scratch, 0
	.set _ZN9rocsparseL12axpyi_kernelILj256EdiddEEvT1_NS_24const_host_device_scalarIT0_EEPKT2_PKS1_PT3_21rocsparse_index_base_b.has_dyn_sized_stack, 0
	.set _ZN9rocsparseL12axpyi_kernelILj256EdiddEEvT1_NS_24const_host_device_scalarIT0_EEPKT2_PKS1_PT3_21rocsparse_index_base_b.has_recursion, 0
	.set _ZN9rocsparseL12axpyi_kernelILj256EdiddEEvT1_NS_24const_host_device_scalarIT0_EEPKT2_PKS1_PT3_21rocsparse_index_base_b.has_indirect_call, 0
	.section	.AMDGPU.csdata,"",@progbits
; Kernel info:
; codeLenInByte = 256
; TotalNumSgprs: 14
; NumVgprs: 7
; ScratchSize: 0
; MemoryBound: 0
; FloatMode: 240
; IeeeMode: 1
; LDSByteSize: 0 bytes/workgroup (compile time only)
; SGPRBlocks: 0
; VGPRBlocks: 0
; NumSGPRsForWavesPerEU: 14
; NumVGPRsForWavesPerEU: 7
; NamedBarCnt: 0
; Occupancy: 16
; WaveLimiterHint : 1
; COMPUTE_PGM_RSRC2:SCRATCH_EN: 0
; COMPUTE_PGM_RSRC2:USER_SGPR: 2
; COMPUTE_PGM_RSRC2:TRAP_HANDLER: 0
; COMPUTE_PGM_RSRC2:TGID_X_EN: 1
; COMPUTE_PGM_RSRC2:TGID_Y_EN: 0
; COMPUTE_PGM_RSRC2:TGID_Z_EN: 0
; COMPUTE_PGM_RSRC2:TIDIG_COMP_CNT: 0
	.section	.text._ZN9rocsparseL12axpyi_kernelILj256E21rocsparse_complex_numIfEiS2_S2_EEvT1_NS_24const_host_device_scalarIT0_EEPKT2_PKS3_PT3_21rocsparse_index_base_b,"axG",@progbits,_ZN9rocsparseL12axpyi_kernelILj256E21rocsparse_complex_numIfEiS2_S2_EEvT1_NS_24const_host_device_scalarIT0_EEPKT2_PKS3_PT3_21rocsparse_index_base_b,comdat
	.globl	_ZN9rocsparseL12axpyi_kernelILj256E21rocsparse_complex_numIfEiS2_S2_EEvT1_NS_24const_host_device_scalarIT0_EEPKT2_PKS3_PT3_21rocsparse_index_base_b ; -- Begin function _ZN9rocsparseL12axpyi_kernelILj256E21rocsparse_complex_numIfEiS2_S2_EEvT1_NS_24const_host_device_scalarIT0_EEPKT2_PKS3_PT3_21rocsparse_index_base_b
	.p2align	8
	.type	_ZN9rocsparseL12axpyi_kernelILj256E21rocsparse_complex_numIfEiS2_S2_EEvT1_NS_24const_host_device_scalarIT0_EEPKT2_PKS3_PT3_21rocsparse_index_base_b,@function
_ZN9rocsparseL12axpyi_kernelILj256E21rocsparse_complex_numIfEiS2_S2_EEvT1_NS_24const_host_device_scalarIT0_EEPKT2_PKS3_PT3_21rocsparse_index_base_b: ; @_ZN9rocsparseL12axpyi_kernelILj256E21rocsparse_complex_numIfEiS2_S2_EEvT1_NS_24const_host_device_scalarIT0_EEPKT2_PKS3_PT3_21rocsparse_index_base_b
; %bb.0:
	s_clause 0x1
	s_load_b64 s[4:5], s[0:1], 0x28
	s_load_b64 s[2:3], s[0:1], 0x8
	v_mov_b32_e32 v1, 0
	s_add_nc_u64 s[6:7], s[0:1], 8
	s_wait_kmcnt 0x0
	s_bitcmp1_b32 s5, 0
	s_cselect_b32 s3, s7, s3
	s_cselect_b32 s2, s6, s2
	s_bfe_u32 s5, ttmp6, 0x4000c
	flat_load_b64 v[2:3], v1, s[2:3]
	s_wait_xcnt 0x0
	s_load_b32 s3, s[0:1], 0x0
	s_add_co_i32 s5, s5, 1
	s_and_b32 s7, ttmp6, 15
	s_mul_i32 s5, ttmp9, s5
	s_getreg_b32 s6, hwreg(HW_REG_IB_STS2, 6, 4)
	s_add_co_i32 s7, s7, s5
	s_wait_loadcnt_dscnt 0x0
	v_cmp_neq_f32_e32 vcc_lo, 0, v2
	v_cmp_neq_f32_e64 s2, 0, v3
	s_or_b32 s2, vcc_lo, s2
	s_cmp_eq_u32 s6, 0
	s_cselect_b32 s5, ttmp9, s7
	s_delay_alu instid0(SALU_CYCLE_1) | instskip(SKIP_1) | instid1(VALU_DEP_1)
	v_lshl_or_b32 v0, s5, 8, v0
	s_wait_kmcnt 0x0
	v_cmp_gt_i32_e32 vcc_lo, s3, v0
	s_and_b32 s2, s2, vcc_lo
	s_delay_alu instid0(SALU_CYCLE_1)
	s_and_saveexec_b32 s3, s2
	s_cbranch_execz .LBB4_2
; %bb.1:
	s_clause 0x1
	s_load_b128 s[8:11], s[0:1], 0x10
	s_load_b64 s[2:3], s[0:1], 0x20
	v_xor_b32_e32 v6, 0x80000000, v3
	v_mov_b32_e32 v7, v2
	s_wait_kmcnt 0x0
	s_clause 0x1
	global_load_b32 v1, v0, s[10:11] scale_offset
	global_load_b64 v[4:5], v0, s[8:9] scale_offset
	s_wait_loadcnt 0x1
	v_subrev_nc_u32_e32 v8, s4, v1
	global_load_b64 v[0:1], v8, s[2:3] scale_offset
	s_wait_loadcnt 0x0
	v_pk_fma_f32 v[0:1], v[2:3], v[4:5], v[0:1] op_sel_hi:[1,0,1]
	s_delay_alu instid0(VALU_DEP_1)
	v_pk_fma_f32 v[0:1], v[6:7], v[4:5], v[0:1] op_sel:[0,1,0]
	global_store_b64 v8, v[0:1], s[2:3] scale_offset
.LBB4_2:
	s_endpgm
	.section	.rodata,"a",@progbits
	.p2align	6, 0x0
	.amdhsa_kernel _ZN9rocsparseL12axpyi_kernelILj256E21rocsparse_complex_numIfEiS2_S2_EEvT1_NS_24const_host_device_scalarIT0_EEPKT2_PKS3_PT3_21rocsparse_index_base_b
		.amdhsa_group_segment_fixed_size 0
		.amdhsa_private_segment_fixed_size 0
		.amdhsa_kernarg_size 48
		.amdhsa_user_sgpr_count 2
		.amdhsa_user_sgpr_dispatch_ptr 0
		.amdhsa_user_sgpr_queue_ptr 0
		.amdhsa_user_sgpr_kernarg_segment_ptr 1
		.amdhsa_user_sgpr_dispatch_id 0
		.amdhsa_user_sgpr_kernarg_preload_length 0
		.amdhsa_user_sgpr_kernarg_preload_offset 0
		.amdhsa_user_sgpr_private_segment_size 0
		.amdhsa_wavefront_size32 1
		.amdhsa_uses_dynamic_stack 0
		.amdhsa_enable_private_segment 0
		.amdhsa_system_sgpr_workgroup_id_x 1
		.amdhsa_system_sgpr_workgroup_id_y 0
		.amdhsa_system_sgpr_workgroup_id_z 0
		.amdhsa_system_sgpr_workgroup_info 0
		.amdhsa_system_vgpr_workitem_id 0
		.amdhsa_next_free_vgpr 9
		.amdhsa_next_free_sgpr 12
		.amdhsa_named_barrier_count 0
		.amdhsa_reserve_vcc 1
		.amdhsa_float_round_mode_32 0
		.amdhsa_float_round_mode_16_64 0
		.amdhsa_float_denorm_mode_32 3
		.amdhsa_float_denorm_mode_16_64 3
		.amdhsa_fp16_overflow 0
		.amdhsa_memory_ordered 1
		.amdhsa_forward_progress 1
		.amdhsa_inst_pref_size 3
		.amdhsa_round_robin_scheduling 0
		.amdhsa_exception_fp_ieee_invalid_op 0
		.amdhsa_exception_fp_denorm_src 0
		.amdhsa_exception_fp_ieee_div_zero 0
		.amdhsa_exception_fp_ieee_overflow 0
		.amdhsa_exception_fp_ieee_underflow 0
		.amdhsa_exception_fp_ieee_inexact 0
		.amdhsa_exception_int_div_zero 0
	.end_amdhsa_kernel
	.section	.text._ZN9rocsparseL12axpyi_kernelILj256E21rocsparse_complex_numIfEiS2_S2_EEvT1_NS_24const_host_device_scalarIT0_EEPKT2_PKS3_PT3_21rocsparse_index_base_b,"axG",@progbits,_ZN9rocsparseL12axpyi_kernelILj256E21rocsparse_complex_numIfEiS2_S2_EEvT1_NS_24const_host_device_scalarIT0_EEPKT2_PKS3_PT3_21rocsparse_index_base_b,comdat
.Lfunc_end4:
	.size	_ZN9rocsparseL12axpyi_kernelILj256E21rocsparse_complex_numIfEiS2_S2_EEvT1_NS_24const_host_device_scalarIT0_EEPKT2_PKS3_PT3_21rocsparse_index_base_b, .Lfunc_end4-_ZN9rocsparseL12axpyi_kernelILj256E21rocsparse_complex_numIfEiS2_S2_EEvT1_NS_24const_host_device_scalarIT0_EEPKT2_PKS3_PT3_21rocsparse_index_base_b
                                        ; -- End function
	.set _ZN9rocsparseL12axpyi_kernelILj256E21rocsparse_complex_numIfEiS2_S2_EEvT1_NS_24const_host_device_scalarIT0_EEPKT2_PKS3_PT3_21rocsparse_index_base_b.num_vgpr, 9
	.set _ZN9rocsparseL12axpyi_kernelILj256E21rocsparse_complex_numIfEiS2_S2_EEvT1_NS_24const_host_device_scalarIT0_EEPKT2_PKS3_PT3_21rocsparse_index_base_b.num_agpr, 0
	.set _ZN9rocsparseL12axpyi_kernelILj256E21rocsparse_complex_numIfEiS2_S2_EEvT1_NS_24const_host_device_scalarIT0_EEPKT2_PKS3_PT3_21rocsparse_index_base_b.numbered_sgpr, 12
	.set _ZN9rocsparseL12axpyi_kernelILj256E21rocsparse_complex_numIfEiS2_S2_EEvT1_NS_24const_host_device_scalarIT0_EEPKT2_PKS3_PT3_21rocsparse_index_base_b.num_named_barrier, 0
	.set _ZN9rocsparseL12axpyi_kernelILj256E21rocsparse_complex_numIfEiS2_S2_EEvT1_NS_24const_host_device_scalarIT0_EEPKT2_PKS3_PT3_21rocsparse_index_base_b.private_seg_size, 0
	.set _ZN9rocsparseL12axpyi_kernelILj256E21rocsparse_complex_numIfEiS2_S2_EEvT1_NS_24const_host_device_scalarIT0_EEPKT2_PKS3_PT3_21rocsparse_index_base_b.uses_vcc, 1
	.set _ZN9rocsparseL12axpyi_kernelILj256E21rocsparse_complex_numIfEiS2_S2_EEvT1_NS_24const_host_device_scalarIT0_EEPKT2_PKS3_PT3_21rocsparse_index_base_b.uses_flat_scratch, 0
	.set _ZN9rocsparseL12axpyi_kernelILj256E21rocsparse_complex_numIfEiS2_S2_EEvT1_NS_24const_host_device_scalarIT0_EEPKT2_PKS3_PT3_21rocsparse_index_base_b.has_dyn_sized_stack, 0
	.set _ZN9rocsparseL12axpyi_kernelILj256E21rocsparse_complex_numIfEiS2_S2_EEvT1_NS_24const_host_device_scalarIT0_EEPKT2_PKS3_PT3_21rocsparse_index_base_b.has_recursion, 0
	.set _ZN9rocsparseL12axpyi_kernelILj256E21rocsparse_complex_numIfEiS2_S2_EEvT1_NS_24const_host_device_scalarIT0_EEPKT2_PKS3_PT3_21rocsparse_index_base_b.has_indirect_call, 0
	.section	.AMDGPU.csdata,"",@progbits
; Kernel info:
; codeLenInByte = 284
; TotalNumSgprs: 14
; NumVgprs: 9
; ScratchSize: 0
; MemoryBound: 0
; FloatMode: 240
; IeeeMode: 1
; LDSByteSize: 0 bytes/workgroup (compile time only)
; SGPRBlocks: 0
; VGPRBlocks: 0
; NumSGPRsForWavesPerEU: 14
; NumVGPRsForWavesPerEU: 9
; NamedBarCnt: 0
; Occupancy: 16
; WaveLimiterHint : 1
; COMPUTE_PGM_RSRC2:SCRATCH_EN: 0
; COMPUTE_PGM_RSRC2:USER_SGPR: 2
; COMPUTE_PGM_RSRC2:TRAP_HANDLER: 0
; COMPUTE_PGM_RSRC2:TGID_X_EN: 1
; COMPUTE_PGM_RSRC2:TGID_Y_EN: 0
; COMPUTE_PGM_RSRC2:TGID_Z_EN: 0
; COMPUTE_PGM_RSRC2:TIDIG_COMP_CNT: 0
	.section	.text._ZN9rocsparseL12axpyi_kernelILj256E21rocsparse_complex_numIdEiS2_S2_EEvT1_NS_24const_host_device_scalarIT0_EEPKT2_PKS3_PT3_21rocsparse_index_base_b,"axG",@progbits,_ZN9rocsparseL12axpyi_kernelILj256E21rocsparse_complex_numIdEiS2_S2_EEvT1_NS_24const_host_device_scalarIT0_EEPKT2_PKS3_PT3_21rocsparse_index_base_b,comdat
	.globl	_ZN9rocsparseL12axpyi_kernelILj256E21rocsparse_complex_numIdEiS2_S2_EEvT1_NS_24const_host_device_scalarIT0_EEPKT2_PKS3_PT3_21rocsparse_index_base_b ; -- Begin function _ZN9rocsparseL12axpyi_kernelILj256E21rocsparse_complex_numIdEiS2_S2_EEvT1_NS_24const_host_device_scalarIT0_EEPKT2_PKS3_PT3_21rocsparse_index_base_b
	.p2align	8
	.type	_ZN9rocsparseL12axpyi_kernelILj256E21rocsparse_complex_numIdEiS2_S2_EEvT1_NS_24const_host_device_scalarIT0_EEPKT2_PKS3_PT3_21rocsparse_index_base_b,@function
_ZN9rocsparseL12axpyi_kernelILj256E21rocsparse_complex_numIdEiS2_S2_EEvT1_NS_24const_host_device_scalarIT0_EEPKT2_PKS3_PT3_21rocsparse_index_base_b: ; @_ZN9rocsparseL12axpyi_kernelILj256E21rocsparse_complex_numIdEiS2_S2_EEvT1_NS_24const_host_device_scalarIT0_EEPKT2_PKS3_PT3_21rocsparse_index_base_b
; %bb.0:
	s_clause 0x1
	s_load_b64 s[4:5], s[0:1], 0x30
	s_load_b64 s[2:3], s[0:1], 0x8
	v_mov_b32_e32 v1, 0
	s_add_nc_u64 s[6:7], s[0:1], 8
	s_wait_kmcnt 0x0
	s_bitcmp1_b32 s5, 0
	s_cselect_b32 s3, s7, s3
	s_cselect_b32 s2, s6, s2
	s_bfe_u32 s5, ttmp6, 0x4000c
	flat_load_b128 v[2:5], v1, s[2:3]
	s_wait_xcnt 0x0
	s_load_b32 s3, s[0:1], 0x0
	s_add_co_i32 s5, s5, 1
	s_and_b32 s7, ttmp6, 15
	s_mul_i32 s5, ttmp9, s5
	s_getreg_b32 s6, hwreg(HW_REG_IB_STS2, 6, 4)
	s_add_co_i32 s7, s7, s5
	s_wait_loadcnt_dscnt 0x0
	v_cmp_neq_f64_e32 vcc_lo, 0, v[2:3]
	v_cmp_neq_f64_e64 s2, 0, v[4:5]
	s_or_b32 s2, vcc_lo, s2
	s_cmp_eq_u32 s6, 0
	s_cselect_b32 s5, ttmp9, s7
	s_delay_alu instid0(SALU_CYCLE_1) | instskip(SKIP_1) | instid1(VALU_DEP_1)
	v_lshl_or_b32 v0, s5, 8, v0
	s_wait_kmcnt 0x0
	v_cmp_gt_i32_e32 vcc_lo, s3, v0
	s_and_b32 s2, s2, vcc_lo
	s_delay_alu instid0(SALU_CYCLE_1)
	s_and_saveexec_b32 s3, s2
	s_cbranch_execz .LBB5_2
; %bb.1:
	s_clause 0x1
	s_load_b128 s[8:11], s[0:1], 0x18
	s_load_b64 s[2:3], s[0:1], 0x28
	s_wait_kmcnt 0x0
	s_clause 0x1
	global_load_b32 v1, v0, s[10:11] scale_offset
	global_load_b128 v[6:9], v0, s[8:9] scale_offset
	s_wait_loadcnt 0x1
	s_wait_xcnt 0x0
	v_subrev_nc_u32_e32 v0, s4, v1
	global_load_b128 v[10:13], v0, s[2:3] scale_offset
	s_wait_loadcnt 0x0
	v_fmac_f64_e32 v[10:11], v[2:3], v[6:7]
	v_fmac_f64_e32 v[12:13], v[4:5], v[6:7]
	s_delay_alu instid0(VALU_DEP_2) | instskip(NEXT) | instid1(VALU_DEP_2)
	v_fma_f64 v[10:11], -v[4:5], v[8:9], v[10:11]
	v_fmac_f64_e32 v[12:13], v[2:3], v[8:9]
	global_store_b128 v0, v[10:13], s[2:3] scale_offset
.LBB5_2:
	s_endpgm
	.section	.rodata,"a",@progbits
	.p2align	6, 0x0
	.amdhsa_kernel _ZN9rocsparseL12axpyi_kernelILj256E21rocsparse_complex_numIdEiS2_S2_EEvT1_NS_24const_host_device_scalarIT0_EEPKT2_PKS3_PT3_21rocsparse_index_base_b
		.amdhsa_group_segment_fixed_size 0
		.amdhsa_private_segment_fixed_size 0
		.amdhsa_kernarg_size 56
		.amdhsa_user_sgpr_count 2
		.amdhsa_user_sgpr_dispatch_ptr 0
		.amdhsa_user_sgpr_queue_ptr 0
		.amdhsa_user_sgpr_kernarg_segment_ptr 1
		.amdhsa_user_sgpr_dispatch_id 0
		.amdhsa_user_sgpr_kernarg_preload_length 0
		.amdhsa_user_sgpr_kernarg_preload_offset 0
		.amdhsa_user_sgpr_private_segment_size 0
		.amdhsa_wavefront_size32 1
		.amdhsa_uses_dynamic_stack 0
		.amdhsa_enable_private_segment 0
		.amdhsa_system_sgpr_workgroup_id_x 1
		.amdhsa_system_sgpr_workgroup_id_y 0
		.amdhsa_system_sgpr_workgroup_id_z 0
		.amdhsa_system_sgpr_workgroup_info 0
		.amdhsa_system_vgpr_workitem_id 0
		.amdhsa_next_free_vgpr 14
		.amdhsa_next_free_sgpr 12
		.amdhsa_named_barrier_count 0
		.amdhsa_reserve_vcc 1
		.amdhsa_float_round_mode_32 0
		.amdhsa_float_round_mode_16_64 0
		.amdhsa_float_denorm_mode_32 3
		.amdhsa_float_denorm_mode_16_64 3
		.amdhsa_fp16_overflow 0
		.amdhsa_memory_ordered 1
		.amdhsa_forward_progress 1
		.amdhsa_inst_pref_size 3
		.amdhsa_round_robin_scheduling 0
		.amdhsa_exception_fp_ieee_invalid_op 0
		.amdhsa_exception_fp_denorm_src 0
		.amdhsa_exception_fp_ieee_div_zero 0
		.amdhsa_exception_fp_ieee_overflow 0
		.amdhsa_exception_fp_ieee_underflow 0
		.amdhsa_exception_fp_ieee_inexact 0
		.amdhsa_exception_int_div_zero 0
	.end_amdhsa_kernel
	.section	.text._ZN9rocsparseL12axpyi_kernelILj256E21rocsparse_complex_numIdEiS2_S2_EEvT1_NS_24const_host_device_scalarIT0_EEPKT2_PKS3_PT3_21rocsparse_index_base_b,"axG",@progbits,_ZN9rocsparseL12axpyi_kernelILj256E21rocsparse_complex_numIdEiS2_S2_EEvT1_NS_24const_host_device_scalarIT0_EEPKT2_PKS3_PT3_21rocsparse_index_base_b,comdat
.Lfunc_end5:
	.size	_ZN9rocsparseL12axpyi_kernelILj256E21rocsparse_complex_numIdEiS2_S2_EEvT1_NS_24const_host_device_scalarIT0_EEPKT2_PKS3_PT3_21rocsparse_index_base_b, .Lfunc_end5-_ZN9rocsparseL12axpyi_kernelILj256E21rocsparse_complex_numIdEiS2_S2_EEvT1_NS_24const_host_device_scalarIT0_EEPKT2_PKS3_PT3_21rocsparse_index_base_b
                                        ; -- End function
	.set _ZN9rocsparseL12axpyi_kernelILj256E21rocsparse_complex_numIdEiS2_S2_EEvT1_NS_24const_host_device_scalarIT0_EEPKT2_PKS3_PT3_21rocsparse_index_base_b.num_vgpr, 14
	.set _ZN9rocsparseL12axpyi_kernelILj256E21rocsparse_complex_numIdEiS2_S2_EEvT1_NS_24const_host_device_scalarIT0_EEPKT2_PKS3_PT3_21rocsparse_index_base_b.num_agpr, 0
	.set _ZN9rocsparseL12axpyi_kernelILj256E21rocsparse_complex_numIdEiS2_S2_EEvT1_NS_24const_host_device_scalarIT0_EEPKT2_PKS3_PT3_21rocsparse_index_base_b.numbered_sgpr, 12
	.set _ZN9rocsparseL12axpyi_kernelILj256E21rocsparse_complex_numIdEiS2_S2_EEvT1_NS_24const_host_device_scalarIT0_EEPKT2_PKS3_PT3_21rocsparse_index_base_b.num_named_barrier, 0
	.set _ZN9rocsparseL12axpyi_kernelILj256E21rocsparse_complex_numIdEiS2_S2_EEvT1_NS_24const_host_device_scalarIT0_EEPKT2_PKS3_PT3_21rocsparse_index_base_b.private_seg_size, 0
	.set _ZN9rocsparseL12axpyi_kernelILj256E21rocsparse_complex_numIdEiS2_S2_EEvT1_NS_24const_host_device_scalarIT0_EEPKT2_PKS3_PT3_21rocsparse_index_base_b.uses_vcc, 1
	.set _ZN9rocsparseL12axpyi_kernelILj256E21rocsparse_complex_numIdEiS2_S2_EEvT1_NS_24const_host_device_scalarIT0_EEPKT2_PKS3_PT3_21rocsparse_index_base_b.uses_flat_scratch, 0
	.set _ZN9rocsparseL12axpyi_kernelILj256E21rocsparse_complex_numIdEiS2_S2_EEvT1_NS_24const_host_device_scalarIT0_EEPKT2_PKS3_PT3_21rocsparse_index_base_b.has_dyn_sized_stack, 0
	.set _ZN9rocsparseL12axpyi_kernelILj256E21rocsparse_complex_numIdEiS2_S2_EEvT1_NS_24const_host_device_scalarIT0_EEPKT2_PKS3_PT3_21rocsparse_index_base_b.has_recursion, 0
	.set _ZN9rocsparseL12axpyi_kernelILj256E21rocsparse_complex_numIdEiS2_S2_EEvT1_NS_24const_host_device_scalarIT0_EEPKT2_PKS3_PT3_21rocsparse_index_base_b.has_indirect_call, 0
	.section	.AMDGPU.csdata,"",@progbits
; Kernel info:
; codeLenInByte = 280
; TotalNumSgprs: 14
; NumVgprs: 14
; ScratchSize: 0
; MemoryBound: 0
; FloatMode: 240
; IeeeMode: 1
; LDSByteSize: 0 bytes/workgroup (compile time only)
; SGPRBlocks: 0
; VGPRBlocks: 0
; NumSGPRsForWavesPerEU: 14
; NumVGPRsForWavesPerEU: 14
; NamedBarCnt: 0
; Occupancy: 16
; WaveLimiterHint : 1
; COMPUTE_PGM_RSRC2:SCRATCH_EN: 0
; COMPUTE_PGM_RSRC2:USER_SGPR: 2
; COMPUTE_PGM_RSRC2:TRAP_HANDLER: 0
; COMPUTE_PGM_RSRC2:TGID_X_EN: 1
; COMPUTE_PGM_RSRC2:TGID_Y_EN: 0
; COMPUTE_PGM_RSRC2:TGID_Z_EN: 0
; COMPUTE_PGM_RSRC2:TIDIG_COMP_CNT: 0
	.section	.text._ZN9rocsparseL12axpyi_kernelILj256Efl18rocsparse_bfloat16S1_EEvT1_NS_24const_host_device_scalarIT0_EEPKT2_PKS2_PT3_21rocsparse_index_base_b,"axG",@progbits,_ZN9rocsparseL12axpyi_kernelILj256Efl18rocsparse_bfloat16S1_EEvT1_NS_24const_host_device_scalarIT0_EEPKT2_PKS2_PT3_21rocsparse_index_base_b,comdat
	.globl	_ZN9rocsparseL12axpyi_kernelILj256Efl18rocsparse_bfloat16S1_EEvT1_NS_24const_host_device_scalarIT0_EEPKT2_PKS2_PT3_21rocsparse_index_base_b ; -- Begin function _ZN9rocsparseL12axpyi_kernelILj256Efl18rocsparse_bfloat16S1_EEvT1_NS_24const_host_device_scalarIT0_EEPKT2_PKS2_PT3_21rocsparse_index_base_b
	.p2align	8
	.type	_ZN9rocsparseL12axpyi_kernelILj256Efl18rocsparse_bfloat16S1_EEvT1_NS_24const_host_device_scalarIT0_EEPKT2_PKS2_PT3_21rocsparse_index_base_b,@function
_ZN9rocsparseL12axpyi_kernelILj256Efl18rocsparse_bfloat16S1_EEvT1_NS_24const_host_device_scalarIT0_EEPKT2_PKS2_PT3_21rocsparse_index_base_b: ; @_ZN9rocsparseL12axpyi_kernelILj256Efl18rocsparse_bfloat16S1_EEvT1_NS_24const_host_device_scalarIT0_EEPKT2_PKS2_PT3_21rocsparse_index_base_b
; %bb.0:
	s_endpgm
	.section	.rodata,"a",@progbits
	.p2align	6, 0x0
	.amdhsa_kernel _ZN9rocsparseL12axpyi_kernelILj256Efl18rocsparse_bfloat16S1_EEvT1_NS_24const_host_device_scalarIT0_EEPKT2_PKS2_PT3_21rocsparse_index_base_b
		.amdhsa_group_segment_fixed_size 0
		.amdhsa_private_segment_fixed_size 0
		.amdhsa_kernarg_size 48
		.amdhsa_user_sgpr_count 2
		.amdhsa_user_sgpr_dispatch_ptr 0
		.amdhsa_user_sgpr_queue_ptr 0
		.amdhsa_user_sgpr_kernarg_segment_ptr 1
		.amdhsa_user_sgpr_dispatch_id 0
		.amdhsa_user_sgpr_kernarg_preload_length 0
		.amdhsa_user_sgpr_kernarg_preload_offset 0
		.amdhsa_user_sgpr_private_segment_size 0
		.amdhsa_wavefront_size32 1
		.amdhsa_uses_dynamic_stack 0
		.amdhsa_enable_private_segment 0
		.amdhsa_system_sgpr_workgroup_id_x 1
		.amdhsa_system_sgpr_workgroup_id_y 0
		.amdhsa_system_sgpr_workgroup_id_z 0
		.amdhsa_system_sgpr_workgroup_info 0
		.amdhsa_system_vgpr_workitem_id 0
		.amdhsa_next_free_vgpr 1
		.amdhsa_next_free_sgpr 1
		.amdhsa_named_barrier_count 0
		.amdhsa_reserve_vcc 0
		.amdhsa_float_round_mode_32 0
		.amdhsa_float_round_mode_16_64 0
		.amdhsa_float_denorm_mode_32 3
		.amdhsa_float_denorm_mode_16_64 3
		.amdhsa_fp16_overflow 0
		.amdhsa_memory_ordered 1
		.amdhsa_forward_progress 1
		.amdhsa_inst_pref_size 1
		.amdhsa_round_robin_scheduling 0
		.amdhsa_exception_fp_ieee_invalid_op 0
		.amdhsa_exception_fp_denorm_src 0
		.amdhsa_exception_fp_ieee_div_zero 0
		.amdhsa_exception_fp_ieee_overflow 0
		.amdhsa_exception_fp_ieee_underflow 0
		.amdhsa_exception_fp_ieee_inexact 0
		.amdhsa_exception_int_div_zero 0
	.end_amdhsa_kernel
	.section	.text._ZN9rocsparseL12axpyi_kernelILj256Efl18rocsparse_bfloat16S1_EEvT1_NS_24const_host_device_scalarIT0_EEPKT2_PKS2_PT3_21rocsparse_index_base_b,"axG",@progbits,_ZN9rocsparseL12axpyi_kernelILj256Efl18rocsparse_bfloat16S1_EEvT1_NS_24const_host_device_scalarIT0_EEPKT2_PKS2_PT3_21rocsparse_index_base_b,comdat
.Lfunc_end6:
	.size	_ZN9rocsparseL12axpyi_kernelILj256Efl18rocsparse_bfloat16S1_EEvT1_NS_24const_host_device_scalarIT0_EEPKT2_PKS2_PT3_21rocsparse_index_base_b, .Lfunc_end6-_ZN9rocsparseL12axpyi_kernelILj256Efl18rocsparse_bfloat16S1_EEvT1_NS_24const_host_device_scalarIT0_EEPKT2_PKS2_PT3_21rocsparse_index_base_b
                                        ; -- End function
	.set _ZN9rocsparseL12axpyi_kernelILj256Efl18rocsparse_bfloat16S1_EEvT1_NS_24const_host_device_scalarIT0_EEPKT2_PKS2_PT3_21rocsparse_index_base_b.num_vgpr, 0
	.set _ZN9rocsparseL12axpyi_kernelILj256Efl18rocsparse_bfloat16S1_EEvT1_NS_24const_host_device_scalarIT0_EEPKT2_PKS2_PT3_21rocsparse_index_base_b.num_agpr, 0
	.set _ZN9rocsparseL12axpyi_kernelILj256Efl18rocsparse_bfloat16S1_EEvT1_NS_24const_host_device_scalarIT0_EEPKT2_PKS2_PT3_21rocsparse_index_base_b.numbered_sgpr, 0
	.set _ZN9rocsparseL12axpyi_kernelILj256Efl18rocsparse_bfloat16S1_EEvT1_NS_24const_host_device_scalarIT0_EEPKT2_PKS2_PT3_21rocsparse_index_base_b.num_named_barrier, 0
	.set _ZN9rocsparseL12axpyi_kernelILj256Efl18rocsparse_bfloat16S1_EEvT1_NS_24const_host_device_scalarIT0_EEPKT2_PKS2_PT3_21rocsparse_index_base_b.private_seg_size, 0
	.set _ZN9rocsparseL12axpyi_kernelILj256Efl18rocsparse_bfloat16S1_EEvT1_NS_24const_host_device_scalarIT0_EEPKT2_PKS2_PT3_21rocsparse_index_base_b.uses_vcc, 0
	.set _ZN9rocsparseL12axpyi_kernelILj256Efl18rocsparse_bfloat16S1_EEvT1_NS_24const_host_device_scalarIT0_EEPKT2_PKS2_PT3_21rocsparse_index_base_b.uses_flat_scratch, 0
	.set _ZN9rocsparseL12axpyi_kernelILj256Efl18rocsparse_bfloat16S1_EEvT1_NS_24const_host_device_scalarIT0_EEPKT2_PKS2_PT3_21rocsparse_index_base_b.has_dyn_sized_stack, 0
	.set _ZN9rocsparseL12axpyi_kernelILj256Efl18rocsparse_bfloat16S1_EEvT1_NS_24const_host_device_scalarIT0_EEPKT2_PKS2_PT3_21rocsparse_index_base_b.has_recursion, 0
	.set _ZN9rocsparseL12axpyi_kernelILj256Efl18rocsparse_bfloat16S1_EEvT1_NS_24const_host_device_scalarIT0_EEPKT2_PKS2_PT3_21rocsparse_index_base_b.has_indirect_call, 0
	.section	.AMDGPU.csdata,"",@progbits
; Kernel info:
; codeLenInByte = 4
; TotalNumSgprs: 0
; NumVgprs: 0
; ScratchSize: 0
; MemoryBound: 0
; FloatMode: 240
; IeeeMode: 1
; LDSByteSize: 0 bytes/workgroup (compile time only)
; SGPRBlocks: 0
; VGPRBlocks: 0
; NumSGPRsForWavesPerEU: 1
; NumVGPRsForWavesPerEU: 1
; NamedBarCnt: 0
; Occupancy: 16
; WaveLimiterHint : 0
; COMPUTE_PGM_RSRC2:SCRATCH_EN: 0
; COMPUTE_PGM_RSRC2:USER_SGPR: 2
; COMPUTE_PGM_RSRC2:TRAP_HANDLER: 0
; COMPUTE_PGM_RSRC2:TGID_X_EN: 1
; COMPUTE_PGM_RSRC2:TGID_Y_EN: 0
; COMPUTE_PGM_RSRC2:TGID_Z_EN: 0
; COMPUTE_PGM_RSRC2:TIDIG_COMP_CNT: 0
	.section	.text._ZN9rocsparseL12axpyi_kernelILj256EflDF16_DF16_EEvT1_NS_24const_host_device_scalarIT0_EEPKT2_PKS1_PT3_21rocsparse_index_base_b,"axG",@progbits,_ZN9rocsparseL12axpyi_kernelILj256EflDF16_DF16_EEvT1_NS_24const_host_device_scalarIT0_EEPKT2_PKS1_PT3_21rocsparse_index_base_b,comdat
	.globl	_ZN9rocsparseL12axpyi_kernelILj256EflDF16_DF16_EEvT1_NS_24const_host_device_scalarIT0_EEPKT2_PKS1_PT3_21rocsparse_index_base_b ; -- Begin function _ZN9rocsparseL12axpyi_kernelILj256EflDF16_DF16_EEvT1_NS_24const_host_device_scalarIT0_EEPKT2_PKS1_PT3_21rocsparse_index_base_b
	.p2align	8
	.type	_ZN9rocsparseL12axpyi_kernelILj256EflDF16_DF16_EEvT1_NS_24const_host_device_scalarIT0_EEPKT2_PKS1_PT3_21rocsparse_index_base_b,@function
_ZN9rocsparseL12axpyi_kernelILj256EflDF16_DF16_EEvT1_NS_24const_host_device_scalarIT0_EEPKT2_PKS1_PT3_21rocsparse_index_base_b: ; @_ZN9rocsparseL12axpyi_kernelILj256EflDF16_DF16_EEvT1_NS_24const_host_device_scalarIT0_EEPKT2_PKS1_PT3_21rocsparse_index_base_b
; %bb.0:
	s_clause 0x1
	s_load_b64 s[2:3], s[0:1], 0x28
	s_load_b128 s[4:7], s[0:1], 0x0
	s_wait_kmcnt 0x0
	s_bitcmp1_b32 s3, 0
	s_cselect_b32 s3, -1, 0
	s_delay_alu instid0(SALU_CYCLE_1)
	s_and_b32 vcc_lo, exec_lo, s3
	s_cbranch_vccnz .LBB7_2
; %bb.1:
	s_load_b32 s6, s[6:7], 0x0
.LBB7_2:
	s_wait_kmcnt 0x0
	s_cmp_neq_f32 s6, 0
	s_getreg_b32 s9, hwreg(HW_REG_IB_STS2, 6, 4)
	v_mov_b32_e32 v1, 0
	s_cselect_b32 s7, -1, 0
	s_bfe_u32 s3, ttmp6, 0x4000c
	s_and_b32 s8, ttmp6, 15
	s_add_co_i32 s3, s3, 1
	s_delay_alu instid0(SALU_CYCLE_1) | instskip(NEXT) | instid1(SALU_CYCLE_1)
	s_mul_i32 s3, ttmp9, s3
	s_add_co_i32 s8, s8, s3
	s_cmp_eq_u32 s9, 0
	s_cselect_b32 s3, ttmp9, s8
	s_delay_alu instid0(SALU_CYCLE_1) | instskip(SKIP_1) | instid1(VALU_DEP_1)
	v_lshl_or_b32 v0, s3, 8, v0
	s_mov_b32 s3, 0
	v_cmp_gt_i64_e32 vcc_lo, s[4:5], v[0:1]
	s_and_b32 s4, s7, vcc_lo
	s_delay_alu instid0(SALU_CYCLE_1)
	s_and_saveexec_b32 s5, s4
	s_cbranch_execz .LBB7_4
; %bb.3:
	s_clause 0x1
	s_load_b128 s[8:11], s[0:1], 0x10
	s_load_b64 s[4:5], s[0:1], 0x20
	s_wait_kmcnt 0x0
	v_lshl_add_u64 v[2:3], v[0:1], 3, s[10:11]
	v_lshl_add_u64 v[0:1], v[0:1], 1, s[8:9]
	global_load_b64 v[2:3], v[2:3], off
	s_wait_loadcnt 0x0
	v_sub_nc_u64_e64 v[2:3], v[2:3], s[2:3]
	s_delay_alu instid0(VALU_DEP_1)
	v_lshl_add_u64 v[2:3], v[2:3], 1, s[4:5]
	global_load_u16 v4, v[0:1], off
	global_load_u16 v5, v[2:3], off
	s_wait_loadcnt 0x0
	v_fma_mixlo_f16 v0, s6, v4, v5 op_sel_hi:[0,1,1]
	global_store_b16 v[2:3], v0, off
.LBB7_4:
	s_endpgm
	.section	.rodata,"a",@progbits
	.p2align	6, 0x0
	.amdhsa_kernel _ZN9rocsparseL12axpyi_kernelILj256EflDF16_DF16_EEvT1_NS_24const_host_device_scalarIT0_EEPKT2_PKS1_PT3_21rocsparse_index_base_b
		.amdhsa_group_segment_fixed_size 0
		.amdhsa_private_segment_fixed_size 0
		.amdhsa_kernarg_size 48
		.amdhsa_user_sgpr_count 2
		.amdhsa_user_sgpr_dispatch_ptr 0
		.amdhsa_user_sgpr_queue_ptr 0
		.amdhsa_user_sgpr_kernarg_segment_ptr 1
		.amdhsa_user_sgpr_dispatch_id 0
		.amdhsa_user_sgpr_kernarg_preload_length 0
		.amdhsa_user_sgpr_kernarg_preload_offset 0
		.amdhsa_user_sgpr_private_segment_size 0
		.amdhsa_wavefront_size32 1
		.amdhsa_uses_dynamic_stack 0
		.amdhsa_enable_private_segment 0
		.amdhsa_system_sgpr_workgroup_id_x 1
		.amdhsa_system_sgpr_workgroup_id_y 0
		.amdhsa_system_sgpr_workgroup_id_z 0
		.amdhsa_system_sgpr_workgroup_info 0
		.amdhsa_system_vgpr_workitem_id 0
		.amdhsa_next_free_vgpr 6
		.amdhsa_next_free_sgpr 12
		.amdhsa_named_barrier_count 0
		.amdhsa_reserve_vcc 1
		.amdhsa_float_round_mode_32 0
		.amdhsa_float_round_mode_16_64 0
		.amdhsa_float_denorm_mode_32 3
		.amdhsa_float_denorm_mode_16_64 3
		.amdhsa_fp16_overflow 0
		.amdhsa_memory_ordered 1
		.amdhsa_forward_progress 1
		.amdhsa_inst_pref_size 3
		.amdhsa_round_robin_scheduling 0
		.amdhsa_exception_fp_ieee_invalid_op 0
		.amdhsa_exception_fp_denorm_src 0
		.amdhsa_exception_fp_ieee_div_zero 0
		.amdhsa_exception_fp_ieee_overflow 0
		.amdhsa_exception_fp_ieee_underflow 0
		.amdhsa_exception_fp_ieee_inexact 0
		.amdhsa_exception_int_div_zero 0
	.end_amdhsa_kernel
	.section	.text._ZN9rocsparseL12axpyi_kernelILj256EflDF16_DF16_EEvT1_NS_24const_host_device_scalarIT0_EEPKT2_PKS1_PT3_21rocsparse_index_base_b,"axG",@progbits,_ZN9rocsparseL12axpyi_kernelILj256EflDF16_DF16_EEvT1_NS_24const_host_device_scalarIT0_EEPKT2_PKS1_PT3_21rocsparse_index_base_b,comdat
.Lfunc_end7:
	.size	_ZN9rocsparseL12axpyi_kernelILj256EflDF16_DF16_EEvT1_NS_24const_host_device_scalarIT0_EEPKT2_PKS1_PT3_21rocsparse_index_base_b, .Lfunc_end7-_ZN9rocsparseL12axpyi_kernelILj256EflDF16_DF16_EEvT1_NS_24const_host_device_scalarIT0_EEPKT2_PKS1_PT3_21rocsparse_index_base_b
                                        ; -- End function
	.set _ZN9rocsparseL12axpyi_kernelILj256EflDF16_DF16_EEvT1_NS_24const_host_device_scalarIT0_EEPKT2_PKS1_PT3_21rocsparse_index_base_b.num_vgpr, 6
	.set _ZN9rocsparseL12axpyi_kernelILj256EflDF16_DF16_EEvT1_NS_24const_host_device_scalarIT0_EEPKT2_PKS1_PT3_21rocsparse_index_base_b.num_agpr, 0
	.set _ZN9rocsparseL12axpyi_kernelILj256EflDF16_DF16_EEvT1_NS_24const_host_device_scalarIT0_EEPKT2_PKS1_PT3_21rocsparse_index_base_b.numbered_sgpr, 12
	.set _ZN9rocsparseL12axpyi_kernelILj256EflDF16_DF16_EEvT1_NS_24const_host_device_scalarIT0_EEPKT2_PKS1_PT3_21rocsparse_index_base_b.num_named_barrier, 0
	.set _ZN9rocsparseL12axpyi_kernelILj256EflDF16_DF16_EEvT1_NS_24const_host_device_scalarIT0_EEPKT2_PKS1_PT3_21rocsparse_index_base_b.private_seg_size, 0
	.set _ZN9rocsparseL12axpyi_kernelILj256EflDF16_DF16_EEvT1_NS_24const_host_device_scalarIT0_EEPKT2_PKS1_PT3_21rocsparse_index_base_b.uses_vcc, 1
	.set _ZN9rocsparseL12axpyi_kernelILj256EflDF16_DF16_EEvT1_NS_24const_host_device_scalarIT0_EEPKT2_PKS1_PT3_21rocsparse_index_base_b.uses_flat_scratch, 0
	.set _ZN9rocsparseL12axpyi_kernelILj256EflDF16_DF16_EEvT1_NS_24const_host_device_scalarIT0_EEPKT2_PKS1_PT3_21rocsparse_index_base_b.has_dyn_sized_stack, 0
	.set _ZN9rocsparseL12axpyi_kernelILj256EflDF16_DF16_EEvT1_NS_24const_host_device_scalarIT0_EEPKT2_PKS1_PT3_21rocsparse_index_base_b.has_recursion, 0
	.set _ZN9rocsparseL12axpyi_kernelILj256EflDF16_DF16_EEvT1_NS_24const_host_device_scalarIT0_EEPKT2_PKS1_PT3_21rocsparse_index_base_b.has_indirect_call, 0
	.section	.AMDGPU.csdata,"",@progbits
; Kernel info:
; codeLenInByte = 272
; TotalNumSgprs: 14
; NumVgprs: 6
; ScratchSize: 0
; MemoryBound: 0
; FloatMode: 240
; IeeeMode: 1
; LDSByteSize: 0 bytes/workgroup (compile time only)
; SGPRBlocks: 0
; VGPRBlocks: 0
; NumSGPRsForWavesPerEU: 14
; NumVGPRsForWavesPerEU: 6
; NamedBarCnt: 0
; Occupancy: 16
; WaveLimiterHint : 1
; COMPUTE_PGM_RSRC2:SCRATCH_EN: 0
; COMPUTE_PGM_RSRC2:USER_SGPR: 2
; COMPUTE_PGM_RSRC2:TRAP_HANDLER: 0
; COMPUTE_PGM_RSRC2:TGID_X_EN: 1
; COMPUTE_PGM_RSRC2:TGID_Y_EN: 0
; COMPUTE_PGM_RSRC2:TGID_Z_EN: 0
; COMPUTE_PGM_RSRC2:TIDIG_COMP_CNT: 0
	.section	.text._ZN9rocsparseL12axpyi_kernelILj256EflffEEvT1_NS_24const_host_device_scalarIT0_EEPKT2_PKS1_PT3_21rocsparse_index_base_b,"axG",@progbits,_ZN9rocsparseL12axpyi_kernelILj256EflffEEvT1_NS_24const_host_device_scalarIT0_EEPKT2_PKS1_PT3_21rocsparse_index_base_b,comdat
	.globl	_ZN9rocsparseL12axpyi_kernelILj256EflffEEvT1_NS_24const_host_device_scalarIT0_EEPKT2_PKS1_PT3_21rocsparse_index_base_b ; -- Begin function _ZN9rocsparseL12axpyi_kernelILj256EflffEEvT1_NS_24const_host_device_scalarIT0_EEPKT2_PKS1_PT3_21rocsparse_index_base_b
	.p2align	8
	.type	_ZN9rocsparseL12axpyi_kernelILj256EflffEEvT1_NS_24const_host_device_scalarIT0_EEPKT2_PKS1_PT3_21rocsparse_index_base_b,@function
_ZN9rocsparseL12axpyi_kernelILj256EflffEEvT1_NS_24const_host_device_scalarIT0_EEPKT2_PKS1_PT3_21rocsparse_index_base_b: ; @_ZN9rocsparseL12axpyi_kernelILj256EflffEEvT1_NS_24const_host_device_scalarIT0_EEPKT2_PKS1_PT3_21rocsparse_index_base_b
; %bb.0:
	s_clause 0x1
	s_load_b64 s[2:3], s[0:1], 0x28
	s_load_b128 s[4:7], s[0:1], 0x0
	s_wait_kmcnt 0x0
	s_bitcmp1_b32 s3, 0
	s_cselect_b32 s3, -1, 0
	s_delay_alu instid0(SALU_CYCLE_1)
	s_and_b32 vcc_lo, exec_lo, s3
	s_cbranch_vccnz .LBB8_2
; %bb.1:
	s_load_b32 s6, s[6:7], 0x0
.LBB8_2:
	s_wait_kmcnt 0x0
	s_cmp_neq_f32 s6, 0
	s_getreg_b32 s9, hwreg(HW_REG_IB_STS2, 6, 4)
	v_mov_b32_e32 v1, 0
	s_cselect_b32 s7, -1, 0
	s_bfe_u32 s3, ttmp6, 0x4000c
	s_and_b32 s8, ttmp6, 15
	s_add_co_i32 s3, s3, 1
	s_delay_alu instid0(SALU_CYCLE_1) | instskip(NEXT) | instid1(SALU_CYCLE_1)
	s_mul_i32 s3, ttmp9, s3
	s_add_co_i32 s8, s8, s3
	s_cmp_eq_u32 s9, 0
	s_cselect_b32 s3, ttmp9, s8
	s_delay_alu instid0(SALU_CYCLE_1) | instskip(SKIP_1) | instid1(VALU_DEP_1)
	v_lshl_or_b32 v0, s3, 8, v0
	s_mov_b32 s3, 0
	v_cmp_gt_i64_e32 vcc_lo, s[4:5], v[0:1]
	s_and_b32 s4, s7, vcc_lo
	s_delay_alu instid0(SALU_CYCLE_1)
	s_and_saveexec_b32 s5, s4
	s_cbranch_execz .LBB8_4
; %bb.3:
	s_clause 0x1
	s_load_b128 s[8:11], s[0:1], 0x10
	s_load_b64 s[4:5], s[0:1], 0x20
	s_wait_kmcnt 0x0
	v_lshl_add_u64 v[2:3], v[0:1], 3, s[10:11]
	v_lshl_add_u64 v[0:1], v[0:1], 2, s[8:9]
	global_load_b64 v[2:3], v[2:3], off
	s_wait_loadcnt 0x0
	v_sub_nc_u64_e64 v[2:3], v[2:3], s[2:3]
	s_delay_alu instid0(VALU_DEP_1)
	v_lshl_add_u64 v[2:3], v[2:3], 2, s[4:5]
	global_load_b32 v4, v[0:1], off
	global_load_b32 v5, v[2:3], off
	s_wait_loadcnt 0x0
	v_fmac_f32_e32 v5, s6, v4
	global_store_b32 v[2:3], v5, off
.LBB8_4:
	s_endpgm
	.section	.rodata,"a",@progbits
	.p2align	6, 0x0
	.amdhsa_kernel _ZN9rocsparseL12axpyi_kernelILj256EflffEEvT1_NS_24const_host_device_scalarIT0_EEPKT2_PKS1_PT3_21rocsparse_index_base_b
		.amdhsa_group_segment_fixed_size 0
		.amdhsa_private_segment_fixed_size 0
		.amdhsa_kernarg_size 48
		.amdhsa_user_sgpr_count 2
		.amdhsa_user_sgpr_dispatch_ptr 0
		.amdhsa_user_sgpr_queue_ptr 0
		.amdhsa_user_sgpr_kernarg_segment_ptr 1
		.amdhsa_user_sgpr_dispatch_id 0
		.amdhsa_user_sgpr_kernarg_preload_length 0
		.amdhsa_user_sgpr_kernarg_preload_offset 0
		.amdhsa_user_sgpr_private_segment_size 0
		.amdhsa_wavefront_size32 1
		.amdhsa_uses_dynamic_stack 0
		.amdhsa_enable_private_segment 0
		.amdhsa_system_sgpr_workgroup_id_x 1
		.amdhsa_system_sgpr_workgroup_id_y 0
		.amdhsa_system_sgpr_workgroup_id_z 0
		.amdhsa_system_sgpr_workgroup_info 0
		.amdhsa_system_vgpr_workitem_id 0
		.amdhsa_next_free_vgpr 6
		.amdhsa_next_free_sgpr 12
		.amdhsa_named_barrier_count 0
		.amdhsa_reserve_vcc 1
		.amdhsa_float_round_mode_32 0
		.amdhsa_float_round_mode_16_64 0
		.amdhsa_float_denorm_mode_32 3
		.amdhsa_float_denorm_mode_16_64 3
		.amdhsa_fp16_overflow 0
		.amdhsa_memory_ordered 1
		.amdhsa_forward_progress 1
		.amdhsa_inst_pref_size 3
		.amdhsa_round_robin_scheduling 0
		.amdhsa_exception_fp_ieee_invalid_op 0
		.amdhsa_exception_fp_denorm_src 0
		.amdhsa_exception_fp_ieee_div_zero 0
		.amdhsa_exception_fp_ieee_overflow 0
		.amdhsa_exception_fp_ieee_underflow 0
		.amdhsa_exception_fp_ieee_inexact 0
		.amdhsa_exception_int_div_zero 0
	.end_amdhsa_kernel
	.section	.text._ZN9rocsparseL12axpyi_kernelILj256EflffEEvT1_NS_24const_host_device_scalarIT0_EEPKT2_PKS1_PT3_21rocsparse_index_base_b,"axG",@progbits,_ZN9rocsparseL12axpyi_kernelILj256EflffEEvT1_NS_24const_host_device_scalarIT0_EEPKT2_PKS1_PT3_21rocsparse_index_base_b,comdat
.Lfunc_end8:
	.size	_ZN9rocsparseL12axpyi_kernelILj256EflffEEvT1_NS_24const_host_device_scalarIT0_EEPKT2_PKS1_PT3_21rocsparse_index_base_b, .Lfunc_end8-_ZN9rocsparseL12axpyi_kernelILj256EflffEEvT1_NS_24const_host_device_scalarIT0_EEPKT2_PKS1_PT3_21rocsparse_index_base_b
                                        ; -- End function
	.set _ZN9rocsparseL12axpyi_kernelILj256EflffEEvT1_NS_24const_host_device_scalarIT0_EEPKT2_PKS1_PT3_21rocsparse_index_base_b.num_vgpr, 6
	.set _ZN9rocsparseL12axpyi_kernelILj256EflffEEvT1_NS_24const_host_device_scalarIT0_EEPKT2_PKS1_PT3_21rocsparse_index_base_b.num_agpr, 0
	.set _ZN9rocsparseL12axpyi_kernelILj256EflffEEvT1_NS_24const_host_device_scalarIT0_EEPKT2_PKS1_PT3_21rocsparse_index_base_b.numbered_sgpr, 12
	.set _ZN9rocsparseL12axpyi_kernelILj256EflffEEvT1_NS_24const_host_device_scalarIT0_EEPKT2_PKS1_PT3_21rocsparse_index_base_b.num_named_barrier, 0
	.set _ZN9rocsparseL12axpyi_kernelILj256EflffEEvT1_NS_24const_host_device_scalarIT0_EEPKT2_PKS1_PT3_21rocsparse_index_base_b.private_seg_size, 0
	.set _ZN9rocsparseL12axpyi_kernelILj256EflffEEvT1_NS_24const_host_device_scalarIT0_EEPKT2_PKS1_PT3_21rocsparse_index_base_b.uses_vcc, 1
	.set _ZN9rocsparseL12axpyi_kernelILj256EflffEEvT1_NS_24const_host_device_scalarIT0_EEPKT2_PKS1_PT3_21rocsparse_index_base_b.uses_flat_scratch, 0
	.set _ZN9rocsparseL12axpyi_kernelILj256EflffEEvT1_NS_24const_host_device_scalarIT0_EEPKT2_PKS1_PT3_21rocsparse_index_base_b.has_dyn_sized_stack, 0
	.set _ZN9rocsparseL12axpyi_kernelILj256EflffEEvT1_NS_24const_host_device_scalarIT0_EEPKT2_PKS1_PT3_21rocsparse_index_base_b.has_recursion, 0
	.set _ZN9rocsparseL12axpyi_kernelILj256EflffEEvT1_NS_24const_host_device_scalarIT0_EEPKT2_PKS1_PT3_21rocsparse_index_base_b.has_indirect_call, 0
	.section	.AMDGPU.csdata,"",@progbits
; Kernel info:
; codeLenInByte = 268
; TotalNumSgprs: 14
; NumVgprs: 6
; ScratchSize: 0
; MemoryBound: 0
; FloatMode: 240
; IeeeMode: 1
; LDSByteSize: 0 bytes/workgroup (compile time only)
; SGPRBlocks: 0
; VGPRBlocks: 0
; NumSGPRsForWavesPerEU: 14
; NumVGPRsForWavesPerEU: 6
; NamedBarCnt: 0
; Occupancy: 16
; WaveLimiterHint : 1
; COMPUTE_PGM_RSRC2:SCRATCH_EN: 0
; COMPUTE_PGM_RSRC2:USER_SGPR: 2
; COMPUTE_PGM_RSRC2:TRAP_HANDLER: 0
; COMPUTE_PGM_RSRC2:TGID_X_EN: 1
; COMPUTE_PGM_RSRC2:TGID_Y_EN: 0
; COMPUTE_PGM_RSRC2:TGID_Z_EN: 0
; COMPUTE_PGM_RSRC2:TIDIG_COMP_CNT: 0
	.section	.text._ZN9rocsparseL12axpyi_kernelILj256EdlddEEvT1_NS_24const_host_device_scalarIT0_EEPKT2_PKS1_PT3_21rocsparse_index_base_b,"axG",@progbits,_ZN9rocsparseL12axpyi_kernelILj256EdlddEEvT1_NS_24const_host_device_scalarIT0_EEPKT2_PKS1_PT3_21rocsparse_index_base_b,comdat
	.globl	_ZN9rocsparseL12axpyi_kernelILj256EdlddEEvT1_NS_24const_host_device_scalarIT0_EEPKT2_PKS1_PT3_21rocsparse_index_base_b ; -- Begin function _ZN9rocsparseL12axpyi_kernelILj256EdlddEEvT1_NS_24const_host_device_scalarIT0_EEPKT2_PKS1_PT3_21rocsparse_index_base_b
	.p2align	8
	.type	_ZN9rocsparseL12axpyi_kernelILj256EdlddEEvT1_NS_24const_host_device_scalarIT0_EEPKT2_PKS1_PT3_21rocsparse_index_base_b,@function
_ZN9rocsparseL12axpyi_kernelILj256EdlddEEvT1_NS_24const_host_device_scalarIT0_EEPKT2_PKS1_PT3_21rocsparse_index_base_b: ; @_ZN9rocsparseL12axpyi_kernelILj256EdlddEEvT1_NS_24const_host_device_scalarIT0_EEPKT2_PKS1_PT3_21rocsparse_index_base_b
; %bb.0:
	s_clause 0x1
	s_load_b64 s[8:9], s[0:1], 0x28
	s_load_b128 s[4:7], s[0:1], 0x0
	s_wait_kmcnt 0x0
	s_bitcmp1_b32 s9, 0
	v_mov_b64_e32 v[2:3], s[6:7]
	s_cselect_b32 s2, -1, 0
	s_delay_alu instid0(SALU_CYCLE_1)
	s_and_b32 vcc_lo, exec_lo, s2
	s_cbranch_vccnz .LBB9_2
; %bb.1:
	v_mov_b32_e32 v1, 0
	flat_load_b64 v[2:3], v1, s[6:7]
.LBB9_2:
	s_wait_loadcnt_dscnt 0x0
	s_delay_alu instid0(VALU_DEP_1)
	v_cmp_neq_f64_e32 vcc_lo, 0, v[2:3]
	s_bfe_u32 s2, ttmp6, 0x4000c
	s_and_b32 s3, ttmp6, 15
	s_add_co_i32 s2, s2, 1
	s_getreg_b32 s6, hwreg(HW_REG_IB_STS2, 6, 4)
	s_mul_i32 s2, ttmp9, s2
	v_mov_b32_e32 v1, 0
	s_add_co_i32 s3, s3, s2
	s_cmp_eq_u32 s6, 0
	s_mov_b32 s9, 0
	s_cselect_b32 s2, ttmp9, s3
	s_delay_alu instid0(SALU_CYCLE_1) | instskip(NEXT) | instid1(VALU_DEP_1)
	v_lshl_or_b32 v0, s2, 8, v0
	v_cmp_gt_i64_e64 s2, s[4:5], v[0:1]
	s_and_b32 s2, vcc_lo, s2
	s_delay_alu instid0(SALU_CYCLE_1)
	s_and_saveexec_b32 s3, s2
	s_cbranch_execz .LBB9_4
; %bb.3:
	s_load_b128 s[4:7], s[0:1], 0x10
	v_lshlrev_b64_e32 v[0:1], 3, v[0:1]
	s_wait_xcnt 0x0
	s_load_b64 s[0:1], s[0:1], 0x20
	s_wait_kmcnt 0x0
	s_delay_alu instid0(VALU_DEP_1) | instskip(SKIP_4) | instid1(VALU_DEP_1)
	v_add_nc_u64_e32 v[4:5], s[6:7], v[0:1]
	v_add_nc_u64_e32 v[0:1], s[4:5], v[0:1]
	global_load_b64 v[4:5], v[4:5], off
	s_wait_loadcnt 0x0
	v_sub_nc_u64_e64 v[4:5], v[4:5], s[8:9]
	v_lshl_add_u64 v[4:5], v[4:5], 3, s[0:1]
	global_load_b64 v[6:7], v[0:1], off
	global_load_b64 v[8:9], v[4:5], off
	s_wait_loadcnt 0x0
	v_fmac_f64_e32 v[8:9], v[2:3], v[6:7]
	global_store_b64 v[4:5], v[8:9], off
.LBB9_4:
	s_endpgm
	.section	.rodata,"a",@progbits
	.p2align	6, 0x0
	.amdhsa_kernel _ZN9rocsparseL12axpyi_kernelILj256EdlddEEvT1_NS_24const_host_device_scalarIT0_EEPKT2_PKS1_PT3_21rocsparse_index_base_b
		.amdhsa_group_segment_fixed_size 0
		.amdhsa_private_segment_fixed_size 0
		.amdhsa_kernarg_size 48
		.amdhsa_user_sgpr_count 2
		.amdhsa_user_sgpr_dispatch_ptr 0
		.amdhsa_user_sgpr_queue_ptr 0
		.amdhsa_user_sgpr_kernarg_segment_ptr 1
		.amdhsa_user_sgpr_dispatch_id 0
		.amdhsa_user_sgpr_kernarg_preload_length 0
		.amdhsa_user_sgpr_kernarg_preload_offset 0
		.amdhsa_user_sgpr_private_segment_size 0
		.amdhsa_wavefront_size32 1
		.amdhsa_uses_dynamic_stack 0
		.amdhsa_enable_private_segment 0
		.amdhsa_system_sgpr_workgroup_id_x 1
		.amdhsa_system_sgpr_workgroup_id_y 0
		.amdhsa_system_sgpr_workgroup_id_z 0
		.amdhsa_system_sgpr_workgroup_info 0
		.amdhsa_system_vgpr_workitem_id 0
		.amdhsa_next_free_vgpr 10
		.amdhsa_next_free_sgpr 10
		.amdhsa_named_barrier_count 0
		.amdhsa_reserve_vcc 1
		.amdhsa_float_round_mode_32 0
		.amdhsa_float_round_mode_16_64 0
		.amdhsa_float_denorm_mode_32 3
		.amdhsa_float_denorm_mode_16_64 3
		.amdhsa_fp16_overflow 0
		.amdhsa_memory_ordered 1
		.amdhsa_forward_progress 1
		.amdhsa_inst_pref_size 3
		.amdhsa_round_robin_scheduling 0
		.amdhsa_exception_fp_ieee_invalid_op 0
		.amdhsa_exception_fp_denorm_src 0
		.amdhsa_exception_fp_ieee_div_zero 0
		.amdhsa_exception_fp_ieee_overflow 0
		.amdhsa_exception_fp_ieee_underflow 0
		.amdhsa_exception_fp_ieee_inexact 0
		.amdhsa_exception_int_div_zero 0
	.end_amdhsa_kernel
	.section	.text._ZN9rocsparseL12axpyi_kernelILj256EdlddEEvT1_NS_24const_host_device_scalarIT0_EEPKT2_PKS1_PT3_21rocsparse_index_base_b,"axG",@progbits,_ZN9rocsparseL12axpyi_kernelILj256EdlddEEvT1_NS_24const_host_device_scalarIT0_EEPKT2_PKS1_PT3_21rocsparse_index_base_b,comdat
.Lfunc_end9:
	.size	_ZN9rocsparseL12axpyi_kernelILj256EdlddEEvT1_NS_24const_host_device_scalarIT0_EEPKT2_PKS1_PT3_21rocsparse_index_base_b, .Lfunc_end9-_ZN9rocsparseL12axpyi_kernelILj256EdlddEEvT1_NS_24const_host_device_scalarIT0_EEPKT2_PKS1_PT3_21rocsparse_index_base_b
                                        ; -- End function
	.set _ZN9rocsparseL12axpyi_kernelILj256EdlddEEvT1_NS_24const_host_device_scalarIT0_EEPKT2_PKS1_PT3_21rocsparse_index_base_b.num_vgpr, 10
	.set _ZN9rocsparseL12axpyi_kernelILj256EdlddEEvT1_NS_24const_host_device_scalarIT0_EEPKT2_PKS1_PT3_21rocsparse_index_base_b.num_agpr, 0
	.set _ZN9rocsparseL12axpyi_kernelILj256EdlddEEvT1_NS_24const_host_device_scalarIT0_EEPKT2_PKS1_PT3_21rocsparse_index_base_b.numbered_sgpr, 10
	.set _ZN9rocsparseL12axpyi_kernelILj256EdlddEEvT1_NS_24const_host_device_scalarIT0_EEPKT2_PKS1_PT3_21rocsparse_index_base_b.num_named_barrier, 0
	.set _ZN9rocsparseL12axpyi_kernelILj256EdlddEEvT1_NS_24const_host_device_scalarIT0_EEPKT2_PKS1_PT3_21rocsparse_index_base_b.private_seg_size, 0
	.set _ZN9rocsparseL12axpyi_kernelILj256EdlddEEvT1_NS_24const_host_device_scalarIT0_EEPKT2_PKS1_PT3_21rocsparse_index_base_b.uses_vcc, 1
	.set _ZN9rocsparseL12axpyi_kernelILj256EdlddEEvT1_NS_24const_host_device_scalarIT0_EEPKT2_PKS1_PT3_21rocsparse_index_base_b.uses_flat_scratch, 0
	.set _ZN9rocsparseL12axpyi_kernelILj256EdlddEEvT1_NS_24const_host_device_scalarIT0_EEPKT2_PKS1_PT3_21rocsparse_index_base_b.has_dyn_sized_stack, 0
	.set _ZN9rocsparseL12axpyi_kernelILj256EdlddEEvT1_NS_24const_host_device_scalarIT0_EEPKT2_PKS1_PT3_21rocsparse_index_base_b.has_recursion, 0
	.set _ZN9rocsparseL12axpyi_kernelILj256EdlddEEvT1_NS_24const_host_device_scalarIT0_EEPKT2_PKS1_PT3_21rocsparse_index_base_b.has_indirect_call, 0
	.section	.AMDGPU.csdata,"",@progbits
; Kernel info:
; codeLenInByte = 276
; TotalNumSgprs: 12
; NumVgprs: 10
; ScratchSize: 0
; MemoryBound: 0
; FloatMode: 240
; IeeeMode: 1
; LDSByteSize: 0 bytes/workgroup (compile time only)
; SGPRBlocks: 0
; VGPRBlocks: 0
; NumSGPRsForWavesPerEU: 12
; NumVGPRsForWavesPerEU: 10
; NamedBarCnt: 0
; Occupancy: 16
; WaveLimiterHint : 1
; COMPUTE_PGM_RSRC2:SCRATCH_EN: 0
; COMPUTE_PGM_RSRC2:USER_SGPR: 2
; COMPUTE_PGM_RSRC2:TRAP_HANDLER: 0
; COMPUTE_PGM_RSRC2:TGID_X_EN: 1
; COMPUTE_PGM_RSRC2:TGID_Y_EN: 0
; COMPUTE_PGM_RSRC2:TGID_Z_EN: 0
; COMPUTE_PGM_RSRC2:TIDIG_COMP_CNT: 0
	.section	.text._ZN9rocsparseL12axpyi_kernelILj256E21rocsparse_complex_numIfElS2_S2_EEvT1_NS_24const_host_device_scalarIT0_EEPKT2_PKS3_PT3_21rocsparse_index_base_b,"axG",@progbits,_ZN9rocsparseL12axpyi_kernelILj256E21rocsparse_complex_numIfElS2_S2_EEvT1_NS_24const_host_device_scalarIT0_EEPKT2_PKS3_PT3_21rocsparse_index_base_b,comdat
	.globl	_ZN9rocsparseL12axpyi_kernelILj256E21rocsparse_complex_numIfElS2_S2_EEvT1_NS_24const_host_device_scalarIT0_EEPKT2_PKS3_PT3_21rocsparse_index_base_b ; -- Begin function _ZN9rocsparseL12axpyi_kernelILj256E21rocsparse_complex_numIfElS2_S2_EEvT1_NS_24const_host_device_scalarIT0_EEPKT2_PKS3_PT3_21rocsparse_index_base_b
	.p2align	8
	.type	_ZN9rocsparseL12axpyi_kernelILj256E21rocsparse_complex_numIfElS2_S2_EEvT1_NS_24const_host_device_scalarIT0_EEPKT2_PKS3_PT3_21rocsparse_index_base_b,@function
_ZN9rocsparseL12axpyi_kernelILj256E21rocsparse_complex_numIfElS2_S2_EEvT1_NS_24const_host_device_scalarIT0_EEPKT2_PKS3_PT3_21rocsparse_index_base_b: ; @_ZN9rocsparseL12axpyi_kernelILj256E21rocsparse_complex_numIfElS2_S2_EEvT1_NS_24const_host_device_scalarIT0_EEPKT2_PKS3_PT3_21rocsparse_index_base_b
; %bb.0:
	s_clause 0x1
	s_load_b64 s[4:5], s[0:1], 0x28
	s_load_b128 s[8:11], s[0:1], 0x0
	v_mov_b32_e32 v1, 0
	s_or_b64 s[2:3], s[0:1], 8
	s_wait_kmcnt 0x0
	s_bitcmp1_b32 s5, 0
	s_getreg_b32 s5, hwreg(HW_REG_IB_STS2, 6, 4)
	s_cselect_b32 s3, s3, s11
	s_cselect_b32 s2, s2, s10
	s_and_b32 s6, ttmp6, 15
	flat_load_b64 v[2:3], v1, s[2:3]
	s_wait_xcnt 0x0
	s_bfe_u32 s3, ttmp6, 0x4000c
	s_delay_alu instid0(SALU_CYCLE_1) | instskip(NEXT) | instid1(SALU_CYCLE_1)
	s_add_co_i32 s3, s3, 1
	s_mul_i32 s3, ttmp9, s3
	s_delay_alu instid0(SALU_CYCLE_1)
	s_add_co_i32 s6, s6, s3
	s_wait_loadcnt_dscnt 0x0
	v_cmp_neq_f32_e32 vcc_lo, 0, v2
	v_cmp_neq_f32_e64 s2, 0, v3
	s_or_b32 s2, vcc_lo, s2
	s_cmp_eq_u32 s5, 0
	s_mov_b32 s5, 0
	s_cselect_b32 s3, ttmp9, s6
	s_delay_alu instid0(SALU_CYCLE_1) | instskip(NEXT) | instid1(VALU_DEP_1)
	v_lshl_or_b32 v0, s3, 8, v0
	v_cmp_gt_i64_e32 vcc_lo, s[8:9], v[0:1]
	s_and_b32 s2, s2, vcc_lo
	s_delay_alu instid0(SALU_CYCLE_1)
	s_and_saveexec_b32 s3, s2
	s_cbranch_execz .LBB10_2
; %bb.1:
	s_load_b128 s[8:11], s[0:1], 0x10
	v_lshlrev_b64_e32 v[0:1], 3, v[0:1]
	s_wait_xcnt 0x0
	s_load_b64 s[0:1], s[0:1], 0x20
	s_wait_kmcnt 0x0
	s_delay_alu instid0(VALU_DEP_1) | instskip(SKIP_4) | instid1(VALU_DEP_1)
	v_add_nc_u64_e32 v[4:5], s[10:11], v[0:1]
	v_add_nc_u64_e32 v[0:1], s[8:9], v[0:1]
	global_load_b64 v[4:5], v[4:5], off
	s_wait_loadcnt 0x0
	v_sub_nc_u64_e64 v[4:5], v[4:5], s[4:5]
	v_lshl_add_u64 v[4:5], v[4:5], 3, s[0:1]
	global_load_b64 v[6:7], v[0:1], off
	global_load_b64 v[8:9], v[4:5], off
	s_wait_xcnt 0x1
	v_xor_b32_e32 v0, 0x80000000, v3
	v_mov_b32_e32 v1, v2
	s_wait_loadcnt 0x0
	v_pk_fma_f32 v[8:9], v[2:3], v[6:7], v[8:9] op_sel_hi:[1,0,1]
	s_delay_alu instid0(VALU_DEP_1)
	v_pk_fma_f32 v[0:1], v[0:1], v[6:7], v[8:9] op_sel:[0,1,0]
	global_store_b64 v[4:5], v[0:1], off
.LBB10_2:
	s_endpgm
	.section	.rodata,"a",@progbits
	.p2align	6, 0x0
	.amdhsa_kernel _ZN9rocsparseL12axpyi_kernelILj256E21rocsparse_complex_numIfElS2_S2_EEvT1_NS_24const_host_device_scalarIT0_EEPKT2_PKS3_PT3_21rocsparse_index_base_b
		.amdhsa_group_segment_fixed_size 0
		.amdhsa_private_segment_fixed_size 0
		.amdhsa_kernarg_size 48
		.amdhsa_user_sgpr_count 2
		.amdhsa_user_sgpr_dispatch_ptr 0
		.amdhsa_user_sgpr_queue_ptr 0
		.amdhsa_user_sgpr_kernarg_segment_ptr 1
		.amdhsa_user_sgpr_dispatch_id 0
		.amdhsa_user_sgpr_kernarg_preload_length 0
		.amdhsa_user_sgpr_kernarg_preload_offset 0
		.amdhsa_user_sgpr_private_segment_size 0
		.amdhsa_wavefront_size32 1
		.amdhsa_uses_dynamic_stack 0
		.amdhsa_enable_private_segment 0
		.amdhsa_system_sgpr_workgroup_id_x 1
		.amdhsa_system_sgpr_workgroup_id_y 0
		.amdhsa_system_sgpr_workgroup_id_z 0
		.amdhsa_system_sgpr_workgroup_info 0
		.amdhsa_system_vgpr_workitem_id 0
		.amdhsa_next_free_vgpr 10
		.amdhsa_next_free_sgpr 12
		.amdhsa_named_barrier_count 0
		.amdhsa_reserve_vcc 1
		.amdhsa_float_round_mode_32 0
		.amdhsa_float_round_mode_16_64 0
		.amdhsa_float_denorm_mode_32 3
		.amdhsa_float_denorm_mode_16_64 3
		.amdhsa_fp16_overflow 0
		.amdhsa_memory_ordered 1
		.amdhsa_forward_progress 1
		.amdhsa_inst_pref_size 3
		.amdhsa_round_robin_scheduling 0
		.amdhsa_exception_fp_ieee_invalid_op 0
		.amdhsa_exception_fp_denorm_src 0
		.amdhsa_exception_fp_ieee_div_zero 0
		.amdhsa_exception_fp_ieee_overflow 0
		.amdhsa_exception_fp_ieee_underflow 0
		.amdhsa_exception_fp_ieee_inexact 0
		.amdhsa_exception_int_div_zero 0
	.end_amdhsa_kernel
	.section	.text._ZN9rocsparseL12axpyi_kernelILj256E21rocsparse_complex_numIfElS2_S2_EEvT1_NS_24const_host_device_scalarIT0_EEPKT2_PKS3_PT3_21rocsparse_index_base_b,"axG",@progbits,_ZN9rocsparseL12axpyi_kernelILj256E21rocsparse_complex_numIfElS2_S2_EEvT1_NS_24const_host_device_scalarIT0_EEPKT2_PKS3_PT3_21rocsparse_index_base_b,comdat
.Lfunc_end10:
	.size	_ZN9rocsparseL12axpyi_kernelILj256E21rocsparse_complex_numIfElS2_S2_EEvT1_NS_24const_host_device_scalarIT0_EEPKT2_PKS3_PT3_21rocsparse_index_base_b, .Lfunc_end10-_ZN9rocsparseL12axpyi_kernelILj256E21rocsparse_complex_numIfElS2_S2_EEvT1_NS_24const_host_device_scalarIT0_EEPKT2_PKS3_PT3_21rocsparse_index_base_b
                                        ; -- End function
	.set _ZN9rocsparseL12axpyi_kernelILj256E21rocsparse_complex_numIfElS2_S2_EEvT1_NS_24const_host_device_scalarIT0_EEPKT2_PKS3_PT3_21rocsparse_index_base_b.num_vgpr, 10
	.set _ZN9rocsparseL12axpyi_kernelILj256E21rocsparse_complex_numIfElS2_S2_EEvT1_NS_24const_host_device_scalarIT0_EEPKT2_PKS3_PT3_21rocsparse_index_base_b.num_agpr, 0
	.set _ZN9rocsparseL12axpyi_kernelILj256E21rocsparse_complex_numIfElS2_S2_EEvT1_NS_24const_host_device_scalarIT0_EEPKT2_PKS3_PT3_21rocsparse_index_base_b.numbered_sgpr, 12
	.set _ZN9rocsparseL12axpyi_kernelILj256E21rocsparse_complex_numIfElS2_S2_EEvT1_NS_24const_host_device_scalarIT0_EEPKT2_PKS3_PT3_21rocsparse_index_base_b.num_named_barrier, 0
	.set _ZN9rocsparseL12axpyi_kernelILj256E21rocsparse_complex_numIfElS2_S2_EEvT1_NS_24const_host_device_scalarIT0_EEPKT2_PKS3_PT3_21rocsparse_index_base_b.private_seg_size, 0
	.set _ZN9rocsparseL12axpyi_kernelILj256E21rocsparse_complex_numIfElS2_S2_EEvT1_NS_24const_host_device_scalarIT0_EEPKT2_PKS3_PT3_21rocsparse_index_base_b.uses_vcc, 1
	.set _ZN9rocsparseL12axpyi_kernelILj256E21rocsparse_complex_numIfElS2_S2_EEvT1_NS_24const_host_device_scalarIT0_EEPKT2_PKS3_PT3_21rocsparse_index_base_b.uses_flat_scratch, 0
	.set _ZN9rocsparseL12axpyi_kernelILj256E21rocsparse_complex_numIfElS2_S2_EEvT1_NS_24const_host_device_scalarIT0_EEPKT2_PKS3_PT3_21rocsparse_index_base_b.has_dyn_sized_stack, 0
	.set _ZN9rocsparseL12axpyi_kernelILj256E21rocsparse_complex_numIfElS2_S2_EEvT1_NS_24const_host_device_scalarIT0_EEPKT2_PKS3_PT3_21rocsparse_index_base_b.has_recursion, 0
	.set _ZN9rocsparseL12axpyi_kernelILj256E21rocsparse_complex_numIfElS2_S2_EEvT1_NS_24const_host_device_scalarIT0_EEPKT2_PKS3_PT3_21rocsparse_index_base_b.has_indirect_call, 0
	.section	.AMDGPU.csdata,"",@progbits
; Kernel info:
; codeLenInByte = 312
; TotalNumSgprs: 14
; NumVgprs: 10
; ScratchSize: 0
; MemoryBound: 0
; FloatMode: 240
; IeeeMode: 1
; LDSByteSize: 0 bytes/workgroup (compile time only)
; SGPRBlocks: 0
; VGPRBlocks: 0
; NumSGPRsForWavesPerEU: 14
; NumVGPRsForWavesPerEU: 10
; NamedBarCnt: 0
; Occupancy: 16
; WaveLimiterHint : 1
; COMPUTE_PGM_RSRC2:SCRATCH_EN: 0
; COMPUTE_PGM_RSRC2:USER_SGPR: 2
; COMPUTE_PGM_RSRC2:TRAP_HANDLER: 0
; COMPUTE_PGM_RSRC2:TGID_X_EN: 1
; COMPUTE_PGM_RSRC2:TGID_Y_EN: 0
; COMPUTE_PGM_RSRC2:TGID_Z_EN: 0
; COMPUTE_PGM_RSRC2:TIDIG_COMP_CNT: 0
	.section	.text._ZN9rocsparseL12axpyi_kernelILj256E21rocsparse_complex_numIdElS2_S2_EEvT1_NS_24const_host_device_scalarIT0_EEPKT2_PKS3_PT3_21rocsparse_index_base_b,"axG",@progbits,_ZN9rocsparseL12axpyi_kernelILj256E21rocsparse_complex_numIdElS2_S2_EEvT1_NS_24const_host_device_scalarIT0_EEPKT2_PKS3_PT3_21rocsparse_index_base_b,comdat
	.globl	_ZN9rocsparseL12axpyi_kernelILj256E21rocsparse_complex_numIdElS2_S2_EEvT1_NS_24const_host_device_scalarIT0_EEPKT2_PKS3_PT3_21rocsparse_index_base_b ; -- Begin function _ZN9rocsparseL12axpyi_kernelILj256E21rocsparse_complex_numIdElS2_S2_EEvT1_NS_24const_host_device_scalarIT0_EEPKT2_PKS3_PT3_21rocsparse_index_base_b
	.p2align	8
	.type	_ZN9rocsparseL12axpyi_kernelILj256E21rocsparse_complex_numIdElS2_S2_EEvT1_NS_24const_host_device_scalarIT0_EEPKT2_PKS3_PT3_21rocsparse_index_base_b,@function
_ZN9rocsparseL12axpyi_kernelILj256E21rocsparse_complex_numIdElS2_S2_EEvT1_NS_24const_host_device_scalarIT0_EEPKT2_PKS3_PT3_21rocsparse_index_base_b: ; @_ZN9rocsparseL12axpyi_kernelILj256E21rocsparse_complex_numIdElS2_S2_EEvT1_NS_24const_host_device_scalarIT0_EEPKT2_PKS3_PT3_21rocsparse_index_base_b
; %bb.0:
	s_clause 0x1
	s_load_b64 s[4:5], s[0:1], 0x30
	s_load_b128 s[8:11], s[0:1], 0x0
	v_mov_b32_e32 v1, 0
	s_or_b64 s[2:3], s[0:1], 8
	s_wait_kmcnt 0x0
	s_bitcmp1_b32 s5, 0
	s_getreg_b32 s5, hwreg(HW_REG_IB_STS2, 6, 4)
	s_cselect_b32 s3, s3, s11
	s_cselect_b32 s2, s2, s10
	s_and_b32 s6, ttmp6, 15
	flat_load_b128 v[2:5], v1, s[2:3]
	s_wait_xcnt 0x0
	s_bfe_u32 s3, ttmp6, 0x4000c
	s_delay_alu instid0(SALU_CYCLE_1) | instskip(NEXT) | instid1(SALU_CYCLE_1)
	s_add_co_i32 s3, s3, 1
	s_mul_i32 s3, ttmp9, s3
	s_delay_alu instid0(SALU_CYCLE_1)
	s_add_co_i32 s6, s6, s3
	s_wait_loadcnt_dscnt 0x0
	v_cmp_neq_f64_e32 vcc_lo, 0, v[2:3]
	v_cmp_neq_f64_e64 s2, 0, v[4:5]
	s_or_b32 s2, vcc_lo, s2
	s_cmp_eq_u32 s5, 0
	s_mov_b32 s5, 0
	s_cselect_b32 s3, ttmp9, s6
	s_delay_alu instid0(SALU_CYCLE_1) | instskip(NEXT) | instid1(VALU_DEP_1)
	v_lshl_or_b32 v0, s3, 8, v0
	v_cmp_gt_i64_e32 vcc_lo, s[8:9], v[0:1]
	s_and_b32 s2, s2, vcc_lo
	s_delay_alu instid0(SALU_CYCLE_1)
	s_and_saveexec_b32 s3, s2
	s_cbranch_execz .LBB11_2
; %bb.1:
	s_clause 0x1
	s_load_b128 s[8:11], s[0:1], 0x18
	s_load_b64 s[2:3], s[0:1], 0x28
	s_wait_kmcnt 0x0
	v_lshl_add_u64 v[6:7], v[0:1], 3, s[10:11]
	v_lshl_add_u64 v[0:1], v[0:1], 4, s[8:9]
	global_load_b64 v[6:7], v[6:7], off
	s_wait_loadcnt 0x0
	v_sub_nc_u64_e64 v[6:7], v[6:7], s[4:5]
	s_delay_alu instid0(VALU_DEP_1)
	v_lshl_add_u64 v[14:15], v[6:7], 4, s[2:3]
	global_load_b128 v[6:9], v[0:1], off
	global_load_b128 v[10:13], v[14:15], off
	s_wait_loadcnt 0x0
	v_fmac_f64_e32 v[10:11], v[2:3], v[6:7]
	v_fmac_f64_e32 v[12:13], v[4:5], v[6:7]
	s_delay_alu instid0(VALU_DEP_2) | instskip(NEXT) | instid1(VALU_DEP_2)
	v_fma_f64 v[10:11], -v[4:5], v[8:9], v[10:11]
	v_fmac_f64_e32 v[12:13], v[2:3], v[8:9]
	global_store_b128 v[14:15], v[10:13], off
.LBB11_2:
	s_endpgm
	.section	.rodata,"a",@progbits
	.p2align	6, 0x0
	.amdhsa_kernel _ZN9rocsparseL12axpyi_kernelILj256E21rocsparse_complex_numIdElS2_S2_EEvT1_NS_24const_host_device_scalarIT0_EEPKT2_PKS3_PT3_21rocsparse_index_base_b
		.amdhsa_group_segment_fixed_size 0
		.amdhsa_private_segment_fixed_size 0
		.amdhsa_kernarg_size 56
		.amdhsa_user_sgpr_count 2
		.amdhsa_user_sgpr_dispatch_ptr 0
		.amdhsa_user_sgpr_queue_ptr 0
		.amdhsa_user_sgpr_kernarg_segment_ptr 1
		.amdhsa_user_sgpr_dispatch_id 0
		.amdhsa_user_sgpr_kernarg_preload_length 0
		.amdhsa_user_sgpr_kernarg_preload_offset 0
		.amdhsa_user_sgpr_private_segment_size 0
		.amdhsa_wavefront_size32 1
		.amdhsa_uses_dynamic_stack 0
		.amdhsa_enable_private_segment 0
		.amdhsa_system_sgpr_workgroup_id_x 1
		.amdhsa_system_sgpr_workgroup_id_y 0
		.amdhsa_system_sgpr_workgroup_id_z 0
		.amdhsa_system_sgpr_workgroup_info 0
		.amdhsa_system_vgpr_workitem_id 0
		.amdhsa_next_free_vgpr 16
		.amdhsa_next_free_sgpr 12
		.amdhsa_named_barrier_count 0
		.amdhsa_reserve_vcc 1
		.amdhsa_float_round_mode_32 0
		.amdhsa_float_round_mode_16_64 0
		.amdhsa_float_denorm_mode_32 3
		.amdhsa_float_denorm_mode_16_64 3
		.amdhsa_fp16_overflow 0
		.amdhsa_memory_ordered 1
		.amdhsa_forward_progress 1
		.amdhsa_inst_pref_size 3
		.amdhsa_round_robin_scheduling 0
		.amdhsa_exception_fp_ieee_invalid_op 0
		.amdhsa_exception_fp_denorm_src 0
		.amdhsa_exception_fp_ieee_div_zero 0
		.amdhsa_exception_fp_ieee_overflow 0
		.amdhsa_exception_fp_ieee_underflow 0
		.amdhsa_exception_fp_ieee_inexact 0
		.amdhsa_exception_int_div_zero 0
	.end_amdhsa_kernel
	.section	.text._ZN9rocsparseL12axpyi_kernelILj256E21rocsparse_complex_numIdElS2_S2_EEvT1_NS_24const_host_device_scalarIT0_EEPKT2_PKS3_PT3_21rocsparse_index_base_b,"axG",@progbits,_ZN9rocsparseL12axpyi_kernelILj256E21rocsparse_complex_numIdElS2_S2_EEvT1_NS_24const_host_device_scalarIT0_EEPKT2_PKS3_PT3_21rocsparse_index_base_b,comdat
.Lfunc_end11:
	.size	_ZN9rocsparseL12axpyi_kernelILj256E21rocsparse_complex_numIdElS2_S2_EEvT1_NS_24const_host_device_scalarIT0_EEPKT2_PKS3_PT3_21rocsparse_index_base_b, .Lfunc_end11-_ZN9rocsparseL12axpyi_kernelILj256E21rocsparse_complex_numIdElS2_S2_EEvT1_NS_24const_host_device_scalarIT0_EEPKT2_PKS3_PT3_21rocsparse_index_base_b
                                        ; -- End function
	.set _ZN9rocsparseL12axpyi_kernelILj256E21rocsparse_complex_numIdElS2_S2_EEvT1_NS_24const_host_device_scalarIT0_EEPKT2_PKS3_PT3_21rocsparse_index_base_b.num_vgpr, 16
	.set _ZN9rocsparseL12axpyi_kernelILj256E21rocsparse_complex_numIdElS2_S2_EEvT1_NS_24const_host_device_scalarIT0_EEPKT2_PKS3_PT3_21rocsparse_index_base_b.num_agpr, 0
	.set _ZN9rocsparseL12axpyi_kernelILj256E21rocsparse_complex_numIdElS2_S2_EEvT1_NS_24const_host_device_scalarIT0_EEPKT2_PKS3_PT3_21rocsparse_index_base_b.numbered_sgpr, 12
	.set _ZN9rocsparseL12axpyi_kernelILj256E21rocsparse_complex_numIdElS2_S2_EEvT1_NS_24const_host_device_scalarIT0_EEPKT2_PKS3_PT3_21rocsparse_index_base_b.num_named_barrier, 0
	.set _ZN9rocsparseL12axpyi_kernelILj256E21rocsparse_complex_numIdElS2_S2_EEvT1_NS_24const_host_device_scalarIT0_EEPKT2_PKS3_PT3_21rocsparse_index_base_b.private_seg_size, 0
	.set _ZN9rocsparseL12axpyi_kernelILj256E21rocsparse_complex_numIdElS2_S2_EEvT1_NS_24const_host_device_scalarIT0_EEPKT2_PKS3_PT3_21rocsparse_index_base_b.uses_vcc, 1
	.set _ZN9rocsparseL12axpyi_kernelILj256E21rocsparse_complex_numIdElS2_S2_EEvT1_NS_24const_host_device_scalarIT0_EEPKT2_PKS3_PT3_21rocsparse_index_base_b.uses_flat_scratch, 0
	.set _ZN9rocsparseL12axpyi_kernelILj256E21rocsparse_complex_numIdElS2_S2_EEvT1_NS_24const_host_device_scalarIT0_EEPKT2_PKS3_PT3_21rocsparse_index_base_b.has_dyn_sized_stack, 0
	.set _ZN9rocsparseL12axpyi_kernelILj256E21rocsparse_complex_numIdElS2_S2_EEvT1_NS_24const_host_device_scalarIT0_EEPKT2_PKS3_PT3_21rocsparse_index_base_b.has_recursion, 0
	.set _ZN9rocsparseL12axpyi_kernelILj256E21rocsparse_complex_numIdElS2_S2_EEvT1_NS_24const_host_device_scalarIT0_EEPKT2_PKS3_PT3_21rocsparse_index_base_b.has_indirect_call, 0
	.section	.AMDGPU.csdata,"",@progbits
; Kernel info:
; codeLenInByte = 304
; TotalNumSgprs: 14
; NumVgprs: 16
; ScratchSize: 0
; MemoryBound: 0
; FloatMode: 240
; IeeeMode: 1
; LDSByteSize: 0 bytes/workgroup (compile time only)
; SGPRBlocks: 0
; VGPRBlocks: 0
; NumSGPRsForWavesPerEU: 14
; NumVGPRsForWavesPerEU: 16
; NamedBarCnt: 0
; Occupancy: 16
; WaveLimiterHint : 1
; COMPUTE_PGM_RSRC2:SCRATCH_EN: 0
; COMPUTE_PGM_RSRC2:USER_SGPR: 2
; COMPUTE_PGM_RSRC2:TRAP_HANDLER: 0
; COMPUTE_PGM_RSRC2:TGID_X_EN: 1
; COMPUTE_PGM_RSRC2:TGID_Y_EN: 0
; COMPUTE_PGM_RSRC2:TGID_Z_EN: 0
; COMPUTE_PGM_RSRC2:TIDIG_COMP_CNT: 0
	.section	.AMDGPU.gpr_maximums,"",@progbits
	.set amdgpu.max_num_vgpr, 0
	.set amdgpu.max_num_agpr, 0
	.set amdgpu.max_num_sgpr, 0
	.section	.AMDGPU.csdata,"",@progbits
	.type	__hip_cuid_f3e271a42427fe9e,@object ; @__hip_cuid_f3e271a42427fe9e
	.section	.bss,"aw",@nobits
	.globl	__hip_cuid_f3e271a42427fe9e
__hip_cuid_f3e271a42427fe9e:
	.byte	0                               ; 0x0
	.size	__hip_cuid_f3e271a42427fe9e, 1

	.ident	"AMD clang version 22.0.0git (https://github.com/RadeonOpenCompute/llvm-project roc-7.2.4 26084 f58b06dce1f9c15707c5f808fd002e18c2accf7e)"
	.section	".note.GNU-stack","",@progbits
	.addrsig
	.addrsig_sym __hip_cuid_f3e271a42427fe9e
	.amdgpu_metadata
---
amdhsa.kernels:
  - .args:
      - .offset:         0
        .size:           4
        .value_kind:     by_value
      - .offset:         8
        .size:           8
        .value_kind:     by_value
      - .actual_access:  read_only
        .address_space:  global
        .offset:         16
        .size:           8
        .value_kind:     global_buffer
      - .actual_access:  read_only
        .address_space:  global
        .offset:         24
        .size:           8
        .value_kind:     global_buffer
      - .address_space:  global
        .offset:         32
        .size:           8
        .value_kind:     global_buffer
      - .offset:         40
        .size:           4
        .value_kind:     by_value
      - .offset:         44
        .size:           1
        .value_kind:     by_value
    .group_segment_fixed_size: 0
    .kernarg_segment_align: 8
    .kernarg_segment_size: 48
    .language:       OpenCL C
    .language_version:
      - 2
      - 0
    .max_flat_workgroup_size: 256
    .name:           _ZN9rocsparseL12axpyi_kernelILj256Efi18rocsparse_bfloat16S1_EEvT1_NS_24const_host_device_scalarIT0_EEPKT2_PKS2_PT3_21rocsparse_index_base_b
    .private_segment_fixed_size: 0
    .sgpr_count:     0
    .sgpr_spill_count: 0
    .symbol:         _ZN9rocsparseL12axpyi_kernelILj256Efi18rocsparse_bfloat16S1_EEvT1_NS_24const_host_device_scalarIT0_EEPKT2_PKS2_PT3_21rocsparse_index_base_b.kd
    .uniform_work_group_size: 1
    .uses_dynamic_stack: false
    .vgpr_count:     0
    .vgpr_spill_count: 0
    .wavefront_size: 32
  - .args:
      - .offset:         0
        .size:           4
        .value_kind:     by_value
      - .offset:         8
        .size:           8
        .value_kind:     by_value
      - .actual_access:  read_only
        .address_space:  global
        .offset:         16
        .size:           8
        .value_kind:     global_buffer
      - .actual_access:  read_only
        .address_space:  global
        .offset:         24
        .size:           8
        .value_kind:     global_buffer
      - .address_space:  global
        .offset:         32
        .size:           8
        .value_kind:     global_buffer
      - .offset:         40
        .size:           4
        .value_kind:     by_value
      - .offset:         44
        .size:           1
        .value_kind:     by_value
    .group_segment_fixed_size: 0
    .kernarg_segment_align: 8
    .kernarg_segment_size: 48
    .language:       OpenCL C
    .language_version:
      - 2
      - 0
    .max_flat_workgroup_size: 256
    .name:           _ZN9rocsparseL12axpyi_kernelILj256EfiDF16_DF16_EEvT1_NS_24const_host_device_scalarIT0_EEPKT2_PKS1_PT3_21rocsparse_index_base_b
    .private_segment_fixed_size: 0
    .sgpr_count:     14
    .sgpr_spill_count: 0
    .symbol:         _ZN9rocsparseL12axpyi_kernelILj256EfiDF16_DF16_EEvT1_NS_24const_host_device_scalarIT0_EEPKT2_PKS1_PT3_21rocsparse_index_base_b.kd
    .uniform_work_group_size: 1
    .uses_dynamic_stack: false
    .vgpr_count:     3
    .vgpr_spill_count: 0
    .wavefront_size: 32
  - .args:
      - .offset:         0
        .size:           4
        .value_kind:     by_value
      - .offset:         8
        .size:           8
        .value_kind:     by_value
      - .actual_access:  read_only
        .address_space:  global
        .offset:         16
        .size:           8
        .value_kind:     global_buffer
      - .actual_access:  read_only
        .address_space:  global
        .offset:         24
        .size:           8
        .value_kind:     global_buffer
      - .address_space:  global
        .offset:         32
        .size:           8
        .value_kind:     global_buffer
      - .offset:         40
        .size:           4
        .value_kind:     by_value
      - .offset:         44
        .size:           1
        .value_kind:     by_value
    .group_segment_fixed_size: 0
    .kernarg_segment_align: 8
    .kernarg_segment_size: 48
    .language:       OpenCL C
    .language_version:
      - 2
      - 0
    .max_flat_workgroup_size: 256
    .name:           _ZN9rocsparseL12axpyi_kernelILj256EfiffEEvT1_NS_24const_host_device_scalarIT0_EEPKT2_PKS1_PT3_21rocsparse_index_base_b
    .private_segment_fixed_size: 0
    .sgpr_count:     14
    .sgpr_spill_count: 0
    .symbol:         _ZN9rocsparseL12axpyi_kernelILj256EfiffEEvT1_NS_24const_host_device_scalarIT0_EEPKT2_PKS1_PT3_21rocsparse_index_base_b.kd
    .uniform_work_group_size: 1
    .uses_dynamic_stack: false
    .vgpr_count:     3
    .vgpr_spill_count: 0
    .wavefront_size: 32
  - .args:
      - .offset:         0
        .size:           4
        .value_kind:     by_value
      - .offset:         8
        .size:           8
        .value_kind:     by_value
      - .actual_access:  read_only
        .address_space:  global
        .offset:         16
        .size:           8
        .value_kind:     global_buffer
      - .actual_access:  read_only
        .address_space:  global
        .offset:         24
        .size:           8
        .value_kind:     global_buffer
      - .address_space:  global
        .offset:         32
        .size:           8
        .value_kind:     global_buffer
      - .offset:         40
        .size:           4
        .value_kind:     by_value
      - .offset:         44
        .size:           1
        .value_kind:     by_value
    .group_segment_fixed_size: 0
    .kernarg_segment_align: 8
    .kernarg_segment_size: 48
    .language:       OpenCL C
    .language_version:
      - 2
      - 0
    .max_flat_workgroup_size: 256
    .name:           _ZN9rocsparseL12axpyi_kernelILj256EdiddEEvT1_NS_24const_host_device_scalarIT0_EEPKT2_PKS1_PT3_21rocsparse_index_base_b
    .private_segment_fixed_size: 0
    .sgpr_count:     14
    .sgpr_spill_count: 0
    .symbol:         _ZN9rocsparseL12axpyi_kernelILj256EdiddEEvT1_NS_24const_host_device_scalarIT0_EEPKT2_PKS1_PT3_21rocsparse_index_base_b.kd
    .uniform_work_group_size: 1
    .uses_dynamic_stack: false
    .vgpr_count:     7
    .vgpr_spill_count: 0
    .wavefront_size: 32
  - .args:
      - .offset:         0
        .size:           4
        .value_kind:     by_value
      - .offset:         8
        .size:           8
        .value_kind:     by_value
      - .actual_access:  read_only
        .address_space:  global
        .offset:         16
        .size:           8
        .value_kind:     global_buffer
      - .actual_access:  read_only
        .address_space:  global
        .offset:         24
        .size:           8
        .value_kind:     global_buffer
      - .address_space:  global
        .offset:         32
        .size:           8
        .value_kind:     global_buffer
      - .offset:         40
        .size:           4
        .value_kind:     by_value
      - .offset:         44
        .size:           1
        .value_kind:     by_value
    .group_segment_fixed_size: 0
    .kernarg_segment_align: 8
    .kernarg_segment_size: 48
    .language:       OpenCL C
    .language_version:
      - 2
      - 0
    .max_flat_workgroup_size: 256
    .name:           _ZN9rocsparseL12axpyi_kernelILj256E21rocsparse_complex_numIfEiS2_S2_EEvT1_NS_24const_host_device_scalarIT0_EEPKT2_PKS3_PT3_21rocsparse_index_base_b
    .private_segment_fixed_size: 0
    .sgpr_count:     14
    .sgpr_spill_count: 0
    .symbol:         _ZN9rocsparseL12axpyi_kernelILj256E21rocsparse_complex_numIfEiS2_S2_EEvT1_NS_24const_host_device_scalarIT0_EEPKT2_PKS3_PT3_21rocsparse_index_base_b.kd
    .uniform_work_group_size: 1
    .uses_dynamic_stack: false
    .vgpr_count:     9
    .vgpr_spill_count: 0
    .wavefront_size: 32
  - .args:
      - .offset:         0
        .size:           4
        .value_kind:     by_value
      - .offset:         8
        .size:           16
        .value_kind:     by_value
      - .actual_access:  read_only
        .address_space:  global
        .offset:         24
        .size:           8
        .value_kind:     global_buffer
      - .actual_access:  read_only
        .address_space:  global
        .offset:         32
        .size:           8
        .value_kind:     global_buffer
      - .address_space:  global
        .offset:         40
        .size:           8
        .value_kind:     global_buffer
      - .offset:         48
        .size:           4
        .value_kind:     by_value
      - .offset:         52
        .size:           1
        .value_kind:     by_value
    .group_segment_fixed_size: 0
    .kernarg_segment_align: 8
    .kernarg_segment_size: 56
    .language:       OpenCL C
    .language_version:
      - 2
      - 0
    .max_flat_workgroup_size: 256
    .name:           _ZN9rocsparseL12axpyi_kernelILj256E21rocsparse_complex_numIdEiS2_S2_EEvT1_NS_24const_host_device_scalarIT0_EEPKT2_PKS3_PT3_21rocsparse_index_base_b
    .private_segment_fixed_size: 0
    .sgpr_count:     14
    .sgpr_spill_count: 0
    .symbol:         _ZN9rocsparseL12axpyi_kernelILj256E21rocsparse_complex_numIdEiS2_S2_EEvT1_NS_24const_host_device_scalarIT0_EEPKT2_PKS3_PT3_21rocsparse_index_base_b.kd
    .uniform_work_group_size: 1
    .uses_dynamic_stack: false
    .vgpr_count:     14
    .vgpr_spill_count: 0
    .wavefront_size: 32
  - .args:
      - .offset:         0
        .size:           8
        .value_kind:     by_value
      - .offset:         8
        .size:           8
        .value_kind:     by_value
      - .actual_access:  read_only
        .address_space:  global
        .offset:         16
        .size:           8
        .value_kind:     global_buffer
      - .actual_access:  read_only
        .address_space:  global
        .offset:         24
        .size:           8
        .value_kind:     global_buffer
      - .address_space:  global
        .offset:         32
        .size:           8
        .value_kind:     global_buffer
      - .offset:         40
        .size:           4
        .value_kind:     by_value
      - .offset:         44
        .size:           1
        .value_kind:     by_value
    .group_segment_fixed_size: 0
    .kernarg_segment_align: 8
    .kernarg_segment_size: 48
    .language:       OpenCL C
    .language_version:
      - 2
      - 0
    .max_flat_workgroup_size: 256
    .name:           _ZN9rocsparseL12axpyi_kernelILj256Efl18rocsparse_bfloat16S1_EEvT1_NS_24const_host_device_scalarIT0_EEPKT2_PKS2_PT3_21rocsparse_index_base_b
    .private_segment_fixed_size: 0
    .sgpr_count:     0
    .sgpr_spill_count: 0
    .symbol:         _ZN9rocsparseL12axpyi_kernelILj256Efl18rocsparse_bfloat16S1_EEvT1_NS_24const_host_device_scalarIT0_EEPKT2_PKS2_PT3_21rocsparse_index_base_b.kd
    .uniform_work_group_size: 1
    .uses_dynamic_stack: false
    .vgpr_count:     0
    .vgpr_spill_count: 0
    .wavefront_size: 32
  - .args:
      - .offset:         0
        .size:           8
        .value_kind:     by_value
      - .offset:         8
        .size:           8
        .value_kind:     by_value
      - .actual_access:  read_only
        .address_space:  global
        .offset:         16
        .size:           8
        .value_kind:     global_buffer
      - .actual_access:  read_only
        .address_space:  global
        .offset:         24
        .size:           8
        .value_kind:     global_buffer
      - .address_space:  global
        .offset:         32
        .size:           8
        .value_kind:     global_buffer
      - .offset:         40
        .size:           4
        .value_kind:     by_value
      - .offset:         44
        .size:           1
        .value_kind:     by_value
    .group_segment_fixed_size: 0
    .kernarg_segment_align: 8
    .kernarg_segment_size: 48
    .language:       OpenCL C
    .language_version:
      - 2
      - 0
    .max_flat_workgroup_size: 256
    .name:           _ZN9rocsparseL12axpyi_kernelILj256EflDF16_DF16_EEvT1_NS_24const_host_device_scalarIT0_EEPKT2_PKS1_PT3_21rocsparse_index_base_b
    .private_segment_fixed_size: 0
    .sgpr_count:     14
    .sgpr_spill_count: 0
    .symbol:         _ZN9rocsparseL12axpyi_kernelILj256EflDF16_DF16_EEvT1_NS_24const_host_device_scalarIT0_EEPKT2_PKS1_PT3_21rocsparse_index_base_b.kd
    .uniform_work_group_size: 1
    .uses_dynamic_stack: false
    .vgpr_count:     6
    .vgpr_spill_count: 0
    .wavefront_size: 32
  - .args:
      - .offset:         0
        .size:           8
        .value_kind:     by_value
      - .offset:         8
        .size:           8
        .value_kind:     by_value
      - .actual_access:  read_only
        .address_space:  global
        .offset:         16
        .size:           8
        .value_kind:     global_buffer
      - .actual_access:  read_only
        .address_space:  global
        .offset:         24
        .size:           8
        .value_kind:     global_buffer
      - .address_space:  global
        .offset:         32
        .size:           8
        .value_kind:     global_buffer
      - .offset:         40
        .size:           4
        .value_kind:     by_value
      - .offset:         44
        .size:           1
        .value_kind:     by_value
    .group_segment_fixed_size: 0
    .kernarg_segment_align: 8
    .kernarg_segment_size: 48
    .language:       OpenCL C
    .language_version:
      - 2
      - 0
    .max_flat_workgroup_size: 256
    .name:           _ZN9rocsparseL12axpyi_kernelILj256EflffEEvT1_NS_24const_host_device_scalarIT0_EEPKT2_PKS1_PT3_21rocsparse_index_base_b
    .private_segment_fixed_size: 0
    .sgpr_count:     14
    .sgpr_spill_count: 0
    .symbol:         _ZN9rocsparseL12axpyi_kernelILj256EflffEEvT1_NS_24const_host_device_scalarIT0_EEPKT2_PKS1_PT3_21rocsparse_index_base_b.kd
    .uniform_work_group_size: 1
    .uses_dynamic_stack: false
    .vgpr_count:     6
    .vgpr_spill_count: 0
    .wavefront_size: 32
  - .args:
      - .offset:         0
        .size:           8
        .value_kind:     by_value
      - .offset:         8
        .size:           8
        .value_kind:     by_value
      - .actual_access:  read_only
        .address_space:  global
        .offset:         16
        .size:           8
        .value_kind:     global_buffer
      - .actual_access:  read_only
        .address_space:  global
        .offset:         24
        .size:           8
        .value_kind:     global_buffer
      - .address_space:  global
        .offset:         32
        .size:           8
        .value_kind:     global_buffer
      - .offset:         40
        .size:           4
        .value_kind:     by_value
      - .offset:         44
        .size:           1
        .value_kind:     by_value
    .group_segment_fixed_size: 0
    .kernarg_segment_align: 8
    .kernarg_segment_size: 48
    .language:       OpenCL C
    .language_version:
      - 2
      - 0
    .max_flat_workgroup_size: 256
    .name:           _ZN9rocsparseL12axpyi_kernelILj256EdlddEEvT1_NS_24const_host_device_scalarIT0_EEPKT2_PKS1_PT3_21rocsparse_index_base_b
    .private_segment_fixed_size: 0
    .sgpr_count:     12
    .sgpr_spill_count: 0
    .symbol:         _ZN9rocsparseL12axpyi_kernelILj256EdlddEEvT1_NS_24const_host_device_scalarIT0_EEPKT2_PKS1_PT3_21rocsparse_index_base_b.kd
    .uniform_work_group_size: 1
    .uses_dynamic_stack: false
    .vgpr_count:     10
    .vgpr_spill_count: 0
    .wavefront_size: 32
  - .args:
      - .offset:         0
        .size:           8
        .value_kind:     by_value
      - .offset:         8
        .size:           8
        .value_kind:     by_value
      - .actual_access:  read_only
        .address_space:  global
        .offset:         16
        .size:           8
        .value_kind:     global_buffer
      - .actual_access:  read_only
        .address_space:  global
        .offset:         24
        .size:           8
        .value_kind:     global_buffer
      - .address_space:  global
        .offset:         32
        .size:           8
        .value_kind:     global_buffer
      - .offset:         40
        .size:           4
        .value_kind:     by_value
      - .offset:         44
        .size:           1
        .value_kind:     by_value
    .group_segment_fixed_size: 0
    .kernarg_segment_align: 8
    .kernarg_segment_size: 48
    .language:       OpenCL C
    .language_version:
      - 2
      - 0
    .max_flat_workgroup_size: 256
    .name:           _ZN9rocsparseL12axpyi_kernelILj256E21rocsparse_complex_numIfElS2_S2_EEvT1_NS_24const_host_device_scalarIT0_EEPKT2_PKS3_PT3_21rocsparse_index_base_b
    .private_segment_fixed_size: 0
    .sgpr_count:     14
    .sgpr_spill_count: 0
    .symbol:         _ZN9rocsparseL12axpyi_kernelILj256E21rocsparse_complex_numIfElS2_S2_EEvT1_NS_24const_host_device_scalarIT0_EEPKT2_PKS3_PT3_21rocsparse_index_base_b.kd
    .uniform_work_group_size: 1
    .uses_dynamic_stack: false
    .vgpr_count:     10
    .vgpr_spill_count: 0
    .wavefront_size: 32
  - .args:
      - .offset:         0
        .size:           8
        .value_kind:     by_value
      - .offset:         8
        .size:           16
        .value_kind:     by_value
      - .actual_access:  read_only
        .address_space:  global
        .offset:         24
        .size:           8
        .value_kind:     global_buffer
      - .actual_access:  read_only
        .address_space:  global
        .offset:         32
        .size:           8
        .value_kind:     global_buffer
      - .address_space:  global
        .offset:         40
        .size:           8
        .value_kind:     global_buffer
      - .offset:         48
        .size:           4
        .value_kind:     by_value
      - .offset:         52
        .size:           1
        .value_kind:     by_value
    .group_segment_fixed_size: 0
    .kernarg_segment_align: 8
    .kernarg_segment_size: 56
    .language:       OpenCL C
    .language_version:
      - 2
      - 0
    .max_flat_workgroup_size: 256
    .name:           _ZN9rocsparseL12axpyi_kernelILj256E21rocsparse_complex_numIdElS2_S2_EEvT1_NS_24const_host_device_scalarIT0_EEPKT2_PKS3_PT3_21rocsparse_index_base_b
    .private_segment_fixed_size: 0
    .sgpr_count:     14
    .sgpr_spill_count: 0
    .symbol:         _ZN9rocsparseL12axpyi_kernelILj256E21rocsparse_complex_numIdElS2_S2_EEvT1_NS_24const_host_device_scalarIT0_EEPKT2_PKS3_PT3_21rocsparse_index_base_b.kd
    .uniform_work_group_size: 1
    .uses_dynamic_stack: false
    .vgpr_count:     16
    .vgpr_spill_count: 0
    .wavefront_size: 32
amdhsa.target:   amdgcn-amd-amdhsa--gfx1250
amdhsa.version:
  - 1
  - 2
...

	.end_amdgpu_metadata
